;; amdgpu-corpus repo=ROCm/aiter kind=harvested arch=n/a opt=n/a

/root/src/amdgpu-assembly/repos/ROCm__aiter/hsa/gfx942/fmha_v3_bwd/bwd_hd64_bf16_a32_rtne_pssk_group.co:	file format elf64-amdgpu

Disassembly of section .text:

0000000000003e00 <_ZN5aiter38fmha_bwd_hd64_bf16_a32_rtne_pssk_groupE>:
	s_and_b32 s1, s1, 0xffff                                   // 000000003E00: 8601FF01 0000FFFF
	s_load_dwordx2 s[32:33], s[0:1], 0x0                       // 000000003E08: C0060800 00000000
	s_load_dwordx2 s[36:37], s[0:1], 0x10                      // 000000003E10: C0060900 00000010
	s_load_dwordx2 s[40:41], s[0:1], 0x20                      // 000000003E18: C0060A00 00000020
	s_load_dwordx2 s[8:9], s[0:1], 0x30                        // 000000003E20: C0060200 00000030
	s_load_dwordx2 s[12:13], s[0:1], 0x40                      // 000000003E28: C0060300 00000040
	s_load_dwordx2 s[16:17], s[0:1], 0x50                      // 000000003E30: C0060400 00000050
	s_load_dwordx2 s[20:21], s[0:1], 0x60                      // 000000003E38: C0060500 00000060
	s_load_dwordx2 s[24:25], s[0:1], 0x70                      // 000000003E40: C0060600 00000070
	s_load_dwordx2 s[28:29], s[0:1], 0x80                      // 000000003E48: C0060700 00000080
	s_load_dword s47, s[0:1], 0x90                             // 000000003E50: C0020BC0 00000090
	s_load_dword s48, s[0:1], 0xa0                             // 000000003E58: C0020C00 000000A0
	s_load_dword s75, s[0:1], 0xd0                             // 000000003E60: C00212C0 000000D0
	s_load_dword s5, s[0:1], 0xf0                              // 000000003E68: C0020140 000000F0
	s_load_dword s44, s[0:1], 0x100                            // 000000003E70: C0020B00 00000100
	s_load_dword s76, s[0:1], 0x110                            // 000000003E78: C0021300 00000110
	s_load_dword s6, s[0:1], 0x130                             // 000000003E80: C0020180 00000130
	s_load_dword s52, s[0:1], 0x140                            // 000000003E88: C0020D00 00000140
	s_load_dword s77, s[0:1], 0x190                            // 000000003E90: C0021340 00000190
	s_load_dword s7, s[0:1], 0x1b0                             // 000000003E98: C00201C0 000001B0
	s_load_dword s78, s[0:1], 0x1c0                            // 000000003EA0: C0021380 000001C0
	s_load_dword s51, s[0:1], 0x1e0                            // 000000003EA8: C0020CC0 000001E0
	s_load_dword s79, s[0:1], 0x1f0                            // 000000003EB0: C00213C0 000001F0
	s_load_dword s80, s[0:1], 0x210                            // 000000003EB8: C0021400 00000210
	s_load_dword s53, s[0:1], 0x230                            // 000000003EC0: C0020D40 00000230
	s_load_dword s49, s[0:1], 0x240                            // 000000003EC8: C0020C40 00000240
	s_load_dwordx2 s[88:89], s[0:1], 0x250                     // 000000003ED0: C0061600 00000250
	s_load_dwordx2 s[92:93], s[0:1], 0x260                     // 000000003ED8: C0061700 00000260
	s_load_dwordx2 s[96:97], s[0:1], 0x270                     // 000000003EE0: C0061800 00000270
	s_load_dwordx2 s[100:101], s[0:1], 0x280                   // 000000003EE8: C0061900 00000280
	v_lshrrev_b32_e32 v1, 10, v0                               // 000000003EF0: 2002008A
	v_lshrrev_b32_e32 v2, 10, v1                               // 000000003EF4: 2004028A
	v_and_b32_e32 v2, 0x3ff, v2                                // 000000003EF8: 260404FF 000003FF
	v_and_b32_e32 v1, 0x3ff, v1                                // 000000003F00: 260202FF 000003FF
	v_and_b32_e32 v0, 0x3ff, v0                                // 000000003F08: 260000FF 000003FF
	v_lshrrev_b32_e32 v3, 6, v0                                // 000000003F10: 20060086
	v_and_b32_e32 v0, 63, v0                                   // 000000003F14: 260000BF
	s_mov_b32 s2, s2                                           // 000000003F18: BE820002
	s_mov_b32 s3, s3                                           // 000000003F1C: BE830003
	s_mov_b32 s4, s4                                           // 000000003F20: BE840004
	v_readfirstlane_b32 s46, v3                                // 000000003F24: 7E5C0503
	s_waitcnt lgkmcnt(0)                                       // 000000003F28: BF8CC07F
	s_mul_i32 s60, s4, 4                                       // 000000003F2C: 923C8404
	s_add_u32 s88, s60, s88                                    // 000000003F30: 8058583C
	s_addc_u32 s89, 0, s89                                     // 000000003F34: 82595980
	s_load_dwordx2 s[82:83], s[88:89], 0x0                     // 000000003F38: C00614AC 00000000
	s_add_u32 s96, s60, s96                                    // 000000003F40: 8060603C
	s_addc_u32 s97, 0, s97                                     // 000000003F44: 82616180
	s_load_dword s86, s[96:97], 0x0                            // 000000003F48: C00215B0 00000000
	s_add_u32 s92, s60, s92                                    // 000000003F50: 805C5C3C
	s_addc_u32 s93, 0, s93                                     // 000000003F54: 825D5D80
	s_load_dwordx2 s[84:85], s[92:93], 0x0                     // 000000003F58: C006152E 00000000
	s_add_u32 s100, s60, s100                                  // 000000003F60: 8064643C
	s_addc_u32 s101, 0, s101                                   // 000000003F64: 82656580
	s_load_dword s87, s[100:101], 0x0                          // 000000003F68: C00215F2 00000000
	s_mov_b32 s11, 0x20000                                     // 000000003F70: BE8B00FF 00020000
	s_mov_b32 s15, 0x20000                                     // 000000003F78: BE8F00FF 00020000
	s_mov_b32 s19, 0x20000                                     // 000000003F80: BE9300FF 00020000
	s_mov_b32 s23, 0x20000                                     // 000000003F88: BE9700FF 00020000
	s_mov_b32 s27, 0x20000                                     // 000000003F90: BE9B00FF 00020000
	s_mov_b32 s31, 0x20000                                     // 000000003F98: BE9F00FF 00020000
	s_mov_b32 s35, 0x20000                                     // 000000003FA0: BEA300FF 00020000
	s_mov_b32 s39, 0x20000                                     // 000000003FA8: BEA700FF 00020000
	s_mov_b32 s43, 0x20000                                     // 000000003FB0: BEAB00FF 00020000
	s_and_b32 s9, s9, 0xffff                                   // 000000003FB8: 8609FF09 0000FFFF
	s_and_b32 s13, s13, 0xffff                                 // 000000003FC0: 860DFF0D 0000FFFF
	s_and_b32 s17, s17, 0xffff                                 // 000000003FC8: 8611FF11 0000FFFF
	s_and_b32 s21, s21, 0xffff                                 // 000000003FD0: 8615FF15 0000FFFF
	s_and_b32 s25, s25, 0xffff                                 // 000000003FD8: 8619FF19 0000FFFF
	s_and_b32 s29, s29, 0xffff                                 // 000000003FE0: 861DFF1D 0000FFFF
	s_and_b32 s33, s33, 0xffff                                 // 000000003FE8: 8621FF21 0000FFFF
	s_and_b32 s37, s37, 0xffff                                 // 000000003FF0: 8625FF25 0000FFFF
	s_and_b32 s41, s41, 0xffff                                 // 000000003FF8: 8629FF29 0000FFFF
	s_or_b32 s9, s9, 0x40000                                   // 000000004000: 8709FF09 00040000
	s_or_b32 s13, s13, 0x40000                                 // 000000004008: 870DFF0D 00040000
	s_or_b32 s17, s17, 0x40000                                 // 000000004010: 8711FF11 00040000
	s_or_b32 s21, s21, 0x40000                                 // 000000004018: 8715FF15 00040000
	s_or_b32 s25, s25, 0x40000                                 // 000000004020: 8719FF19 00040000
	s_or_b32 s29, s29, 0x40000                                 // 000000004028: 871DFF1D 00040000
	s_or_b32 s33, s33, 0x40000                                 // 000000004030: 8721FF21 00040000
	s_or_b32 s37, s37, 0x40000                                 // 000000004038: 8725FF25 00040000
	s_or_b32 s41, s41, 0x40000                                 // 000000004040: 8729FF29 00040000
	s_waitcnt lgkmcnt(0)                                       // 000000004048: BF8CC07F
	s_mul_i32 s61, s2, 0xc0                                    // 00000000404C: 923DFF02 000000C0
	s_sub_i32 s85, s85, s84                                    // 000000004054: 81D55455
	s_mov_b32 s84, s87                                         // 000000004058: BED40057
	s_sub_i32 s83, s83, s82                                    // 00000000405C: 81D35253
	s_mov_b32 s82, s86                                         // 000000004060: BED20056
	s_cmp_gt_i32 s83, 0                                        // 000000004064: BF028053
	s_cbranch_scc0 label_1F19                                  // 000000004068: BF841E5A
	s_mov_b32 s58, s83                                         // 00000000406C: BEBA0053
	s_mov_b32 s59, 0                                           // 000000004070: BEBB0080
	s_cmp_ge_i32 s61, s85                                      // 000000004074: BF03553D
	s_cbranch_scc1 label_1F19                                  // 000000004078: BF851E56
	v_accvgpr_write_b32 a159, 0                                // 00000000407C: D3D9409F 18000080
	v_mov_b32_e32 v234, 0                                      // 000000004084: 7FD40280
	s_mov_b32 s71, s3                                          // 000000004088: BEC70003
	v_cvt_f32_u32_e32 v32, s44                                 // 00000000408C: 7E400C2C
	s_sub_i32 s60, 0, s44                                      // 000000004090: 81BC2C80
	v_rcp_iflag_f32_e32 v32, v32                               // 000000004094: 7E404720
	s_nop 0                                                    // 000000004098: BF800000
	v_mul_f32_e32 v32, 0x4f7ffffe, v32                         // 00000000409C: 0A4040FF 4F7FFFFE
	v_cvt_u32_f32_e32 v32, v32                                 // 0000000040A4: 7E400F20
	v_mul_lo_u32 v33, s60, v32                                 // 0000000040A8: D2850021 0002403C
	v_mul_hi_u32 v33, v32, v33                                 // 0000000040B0: D2860021 00024320
	v_add_u32_e32 v32, v32, v33                                // 0000000040B8: 68404320
	v_mul_hi_u32 v32, s71, v32                                 // 0000000040BC: D2860020 00024047
	v_mul_lo_u32 v33, v32, s44                                 // 0000000040C4: D2850021 00005920
	v_sub_u32_e32 v35, s71, v33                                // 0000000040CC: 6A464247
	v_add_u32_e32 v34, 1, v32                                  // 0000000040D0: 68444081
	v_cmp_le_u32_e32 vcc, s44, v35                             // 0000000040D4: 7D96462C
	v_subrev_u32_e32 v33, s44, v35                             // 0000000040D8: 6C42462C
	s_nop 0                                                    // 0000000040DC: BF800000
	v_cndmask_b32_e32 v32, v32, v34, vcc                       // 0000000040E0: 00404520
	v_cndmask_b32_e32 v35, v35, v33, vcc                       // 0000000040E4: 00464323
	v_add_u32_e32 v33, 1, v32                                  // 0000000040E8: 68424081
	v_cmp_le_u32_e32 vcc, s44, v35                             // 0000000040EC: 7D96462C
	s_nop 1                                                    // 0000000040F0: BF800001
	v_cndmask_b32_e32 v35, v32, v33, vcc                       // 0000000040F4: 00464320
	s_nop 3                                                    // 0000000040F8: BF800003
	v_readfirstlane_b32 s45, v35                               // 0000000040FC: 7E5A0523
	s_nop 3                                                    // 000000004100: BF800003
	s_mov_b32 s88, s8                                          // 000000004104: BED80008
	s_mov_b32 s90, s12                                         // 000000004108: BEDA000C
	s_mov_b32 s92, s16                                         // 00000000410C: BEDC0010
	s_mov_b32 s94, s20                                         // 000000004110: BEDE0014
	s_mov_b32 s89, s9                                          // 000000004114: BED90009
	s_mov_b32 s91, s13                                         // 000000004118: BEDB000D
	s_mov_b32 s93, s17                                         // 00000000411C: BEDD0011
	s_mov_b32 s95, s21                                         // 000000004120: BEDF0015
	v_mov_b32_e32 v32, s47                                     // 000000004124: 7E40022F
	v_mul_f32_e32 v32, s48, v32                                // 000000004128: 0A404030
	s_mov_b32 s66, 0                                           // 00000000412C: BEC20080
	s_mov_b32 s63, 0x5040100                                   // 000000004130: BEBF00FF 05040100
	s_mov_b32 s64, 0x7060302                                   // 000000004138: BEC000FF 07060302
	v_readfirstlane_b32 s57, v32                               // 000000004140: 7E720520
	v_mov_b32_e32 v34, 0x3020706                               // 000000004144: 7E4402FF 03020706
	v_mov_b32_e32 v32, s63                                     // 00000000414C: 7E40023F
	v_and_b32_e32 v33, 1, v0                                   // 000000004150: 26420081
	v_cmp_eq_u32_e32 vcc, 1, v33                               // 000000004154: 7D944281
	s_mov_b32 s67, 0x800                                       // 000000004158: BEC300FF 00000800
	v_cndmask_b32_e32 v17, v32, v34, vcc                       // 000000004160: 00224520
	v_mov_b32_e32 v230, 0xff800000                             // 000000004164: 7FCC02FF FF800000
	s_mul_i32 s68, 8, s5                                       // 00000000416C: 92440588
	s_mul_i32 s81, 8, s51                                      // 000000004170: 92513388
	s_mov_b32 s69, 32                                          // 000000004174: BEC500A0
	s_mul_i32 s60, s6, 0xc0                                    // 000000004178: 923CFF06 000000C0
	s_mul_i32 s60, s2, s60                                     // 000000004180: 923C3C02
	s_mul_i32 s61, s45, s76                                    // 000000004184: 923D4C2D
	s_add_u32 s54, s60, s61                                    // 000000004188: 80363D3C
	s_mul_i32 s60, s2, 0xc0                                    // 00000000418C: 923CFF02 000000C0
	s_sub_i32 s60, s85, s60                                    // 000000004194: 81BC3C55
	s_mul_i32 s60, s6, s60                                     // 000000004198: 923C3C06
	s_lshr_b32 s60, s60, 2                                     // 00000000419C: 8F3C823C
	s_mov_b32 s14, s60                                         // 0000000041A0: BE8E003C
	s_add_u32 s12, s54, s90                                    // 0000000041A4: 800C5A36
	s_addc_u32 s13, 0, s91                                     // 0000000041A8: 820D5B80
	s_mul_i32 s60, s84, s6                                     // 0000000041AC: 923C0654
	s_mul_hi_u32 s61, s84, s6                                  // 0000000041B0: 963D0654
	s_and_b32 s61, s61, 0xffff                                 // 0000000041B4: 863DFF3D 0000FFFF
	s_add_u32 s12, s12, s60                                    // 0000000041BC: 800C3C0C
	s_addc_u32 s13, s13, s61                                   // 0000000041C0: 820D3D0D
	s_mul_i32 s60, s7, 0xc0                                    // 0000000041C4: 923CFF07 000000C0
	s_mul_i32 s60, s2, s60                                     // 0000000041CC: 923C3C02
	s_mul_i32 s61, s45, s77                                    // 0000000041D0: 923D4D2D
	s_add_u32 s54, s60, s61                                    // 0000000041D4: 80363D3C
	s_mul_i32 s60, s2, 0xc0                                    // 0000000041D8: 923CFF02 000000C0
	s_sub_i32 s60, s85, s60                                    // 0000000041E0: 81BC3C55
	s_mul_i32 s60, s7, s60                                     // 0000000041E4: 923C3C07
	s_lshr_b32 s60, s60, 2                                     // 0000000041E8: 8F3C823C
	s_mov_b32 s18, s60                                         // 0000000041EC: BE92003C
	s_add_u32 s16, s54, s92                                    // 0000000041F0: 80105C36
	s_addc_u32 s17, 0, s93                                     // 0000000041F4: 82115D80
	s_mul_i32 s60, s84, s7                                     // 0000000041F8: 923C0754
	s_mul_hi_u32 s61, s84, s7                                  // 0000000041FC: 963D0754
	s_and_b32 s61, s61, 0xffff                                 // 000000004200: 863DFF3D 0000FFFF
	s_add_u32 s16, s16, s60                                    // 000000004208: 80103C10
	s_addc_u32 s17, s17, s61                                   // 00000000420C: 82113D11
	s_mul_i32 s61, s3, s75                                     // 000000004210: 923D4B03
	s_mov_b32 s55, s61                                         // 000000004214: BEB7003D
	s_mul_i32 s60, s5, s83                                     // 000000004218: 923C5305
	s_lshr_b32 s60, s60, 2                                     // 00000000421C: 8F3C823C
	s_mov_b32 s10, s60                                         // 000000004220: BE8A003C
	s_add_u32 s8, s55, s88                                     // 000000004224: 80085837
	s_addc_u32 s9, 0, s89                                      // 000000004228: 82095980
	s_mul_i32 s60, s82, s5                                     // 00000000422C: 923C0552
	s_mul_hi_u32 s61, s82, s5                                  // 000000004230: 963D0552
	s_and_b32 s61, s61, 0xffff                                 // 000000004234: 863DFF3D 0000FFFF
	s_add_u32 s8, s8, s60                                      // 00000000423C: 80083C08
	s_addc_u32 s9, s9, s61                                     // 000000004240: 82093D09
	s_mul_i32 s61, s3, s78                                     // 000000004244: 923D4E03
	s_mov_b32 s56, s61                                         // 000000004248: BEB8003D
	s_mul_i32 s60, s51, s83                                    // 00000000424C: 923C5333
	s_lshr_b32 s60, s60, 2                                     // 000000004250: 8F3C823C
	s_mov_b32 s22, s60                                         // 000000004254: BE96003C
	s_add_u32 s20, s56, s94                                    // 000000004258: 80145E38
	s_addc_u32 s21, 0, s95                                     // 00000000425C: 82155F80
	s_mul_i32 s60, s82, s51                                    // 000000004260: 923C3352
	s_mul_hi_u32 s61, s82, s51                                 // 000000004264: 963D3352
	s_and_b32 s61, s61, 0xffff                                 // 000000004268: 863DFF3D 0000FFFF
	s_add_u32 s20, s20, s60                                    // 000000004270: 80143C14
	s_addc_u32 s21, s21, s61                                   // 000000004274: 82153D15
	s_mul_i32 s62, 4, s82                                      // 000000004278: 923E5284
	s_mul_i32 s61, s3, s49                                     // 00000000427C: 923D3103
	s_add_u32 s65, s61, s62                                    // 000000004280: 80413E3D
	s_mul_i32 s60, 4, s83                                      // 000000004284: 923C5384
	s_add_u32 s60, s60, s61                                    // 000000004288: 803C3D3C
	s_add_u32 s60, s60, s62                                    // 00000000428C: 803C3E3C
	s_lshr_b32 s60, s60, 2                                     // 000000004290: 8F3C823C
	s_mov_b32 s26, s60                                         // 000000004294: BE9A003C
	s_mov_b32 s30, s60                                         // 000000004298: BE9E003C
	s_cmp_lt_u32 s46, 2                                        // 00000000429C: BF0A822E
	s_cselect_b32 s24, s24, s28                                // 0000000042A0: 85181C18
	s_cselect_b32 s25, s25, s29                                // 0000000042A4: 85191D19
	s_cselect_b32 s26, s26, s30                                // 0000000042A8: 851A1E1A
	s_cselect_b32 s27, s27, s31                                // 0000000042AC: 851B1F1B
	s_mov_b32 s71, s6                                          // 0000000042B0: BEC70006
	v_lshrrev_b32_e32 v32, 4, v0                               // 0000000042B4: 20400084
	v_and_b32_e32 v33, 1, v32                                  // 0000000042B8: 26424081
	v_lshlrev_b32_e32 v33, 1, v33                              // 0000000042BC: 24424281
	v_mul_i32_i24_e32 v33, s71, v33                            // 0000000042C0: 0C424247
	v_and_b32_e32 v34, 2, v32                                  // 0000000042C4: 26444082
	v_lshlrev_b32_e32 v34, 5, v34                              // 0000000042C8: 24444485
	v_add_u32_e32 v33, v34, v33                                // 0000000042CC: 68424322
	v_and_b32_e32 v32, 15, v0                                  // 0000000042D0: 2640008F
	v_lshlrev_b32_e32 v32, 2, v32                              // 0000000042D4: 24404082
	v_add_u32_e32 v1, v32, v33                                 // 0000000042D8: 68024320
	s_mul_i32 s60, s46, s71                                    // 0000000042DC: 923C472E
	s_mul_i32 s60, s60, 4                                      // 0000000042E0: 923C843C
	v_add_u32_e32 v1, s60, v1                                  // 0000000042E4: 6802023C
	v_add_u32_e32 v2, s71, v1                                  // 0000000042E8: 68040247
	s_mul_i32 s60, 16, s71                                     // 0000000042EC: 923C4790
	v_add_u32_e32 v3, s60, v1                                  // 0000000042F0: 6806023C
	v_add_u32_e32 v4, s60, v2                                  // 0000000042F4: 6808043C
	s_mov_b32 s71, s7                                          // 0000000042F8: BEC70007
	v_lshrrev_b32_e32 v32, 4, v0                               // 0000000042FC: 20400084
	v_and_b32_e32 v33, 1, v32                                  // 000000004300: 26424081
	v_lshlrev_b32_e32 v33, 1, v33                              // 000000004304: 24424281
	v_mul_i32_i24_e32 v33, s71, v33                            // 000000004308: 0C424247
	v_and_b32_e32 v34, 2, v32                                  // 00000000430C: 26444082
	v_lshlrev_b32_e32 v34, 5, v34                              // 000000004310: 24444485
	v_add_u32_e32 v33, v34, v33                                // 000000004314: 68424322
	v_and_b32_e32 v32, 15, v0                                  // 000000004318: 2640008F
	v_lshlrev_b32_e32 v32, 2, v32                              // 00000000431C: 24404082
	v_add_u32_e32 v231, v32, v33                               // 000000004320: 69CE4320
	s_mul_i32 s60, s46, s71                                    // 000000004324: 923C472E
	s_mul_i32 s60, s60, 4                                      // 000000004328: 923C843C
	v_add_u32_e32 v231, s60, v231                              // 00000000432C: 69CFCE3C
	v_add_u32_e32 v232, s71, v231                              // 000000004330: 69D1CE47
	s_mul_i32 s60, 16, s71                                     // 000000004334: 923C4790
	v_add_u32_e32 v233, s60, v231                              // 000000004338: 69D3CE3C
	v_add_u32_e32 v234, s60, v232                              // 00000000433C: 69D5D03C
	v_lshrrev_b32_e32 v1, 2, v1                                // 000000004340: 20020282
	v_lshrrev_b32_e32 v2, 2, v2                                // 000000004344: 20040482
	v_lshrrev_b32_e32 v231, 2, v231                            // 000000004348: 21CFCE82
	v_lshrrev_b32_e32 v232, 2, v232                            // 00000000434C: 21D1D082
	v_and_b32_e32 v11, 31, v0                                  // 000000004350: 2616009F
	v_lshlrev_b32_e32 v11, 2, v11                              // 000000004354: 24161682
	v_add_u32_e32 v11, s65, v11                                // 000000004358: 68161641
	v_lshrrev_b32_e32 v11, 2, v11                              // 00000000435C: 20161682
	s_mov_b32 s70, s52                                         // 000000004360: BEC60034
	v_lshrrev_b32_e32 v32, 3, v0                               // 000000004364: 20400083
	v_mul_i32_i24_e32 v5, s70, v32                             // 000000004368: 0C0A4046
	v_lshrrev_b32_e32 v5, 2, v5                                // 00000000436C: 200A0A82
	v_and_b32_e32 v32, 7, v0                                   // 000000004370: 26400087
	v_lshlrev_b32_e32 v33, 2, v32                              // 000000004374: 24424082
	v_add_u32_e32 v5, v33, v5                                  // 000000004378: 680A0B21
	s_mul_i32 s60, 16, s70                                     // 00000000437C: 923C4690
	s_mul_i32 s60, s46, s60                                    // 000000004380: 923C3C2E
	v_lshlrev_b32_e32 v5, 2, v5                                // 000000004384: 240A0A82
	v_add_u32_e32 v5, s60, v5                                  // 000000004388: 680A0A3C
	s_mul_i32 s60, 0xc0, s52                                   // 00000000438C: 923C34FF 000000C0
	s_mul_i32 s60, s2, s60                                     // 000000004394: 923C3C02
	s_mul_i32 s61, s3, s79                                     // 000000004398: 923D4F03
	s_mul_i32 s62, s84, s52                                    // 00000000439C: 923E3454
	s_add_u32 s60, s60, s61                                    // 0000000043A0: 803C3D3C
	v_add_u32_e32 v5, s60, v5                                  // 0000000043A4: 680A0A3C
	v_lshrrev_b32_e32 v5, 2, v5                                // 0000000043A8: 200A0A82
	s_mul_i32 s60, s85, s52                                    // 0000000043AC: 923C3455
	s_add_u32 s60, s60, s61                                    // 0000000043B0: 803C3D3C
	s_lshr_b32 s60, s60, 2                                     // 0000000043B4: 8F3C823C
	s_mov_b32 s38, s60                                         // 0000000043B8: BEA6003C
	s_mul_hi_u32 s60, s84, s52                                 // 0000000043BC: 963C3454
	s_and_b32 s60, s60, 0xffff                                 // 0000000043C0: 863CFF3C 0000FFFF
	s_add_u32 s36, s62, s36                                    // 0000000043C8: 8024243E
	s_addc_u32 s37, s60, s37                                   // 0000000043CC: 8225253C
	s_mov_b32 s70, s53                                         // 0000000043D0: BEC60035
	v_lshrrev_b32_e32 v32, 3, v0                               // 0000000043D4: 20400083
	v_mul_i32_i24_e32 v10, s70, v32                            // 0000000043D8: 0C144046
	v_lshrrev_b32_e32 v10, 2, v10                              // 0000000043DC: 20141482
	v_and_b32_e32 v32, 7, v0                                   // 0000000043E0: 26400087
	v_lshlrev_b32_e32 v33, 2, v32                              // 0000000043E4: 24424082
	v_add_u32_e32 v10, v33, v10                                // 0000000043E8: 68141521
	s_mul_i32 s60, 16, s70                                     // 0000000043EC: 923C4690
	s_mul_i32 s60, s46, s60                                    // 0000000043F0: 923C3C2E
	v_lshlrev_b32_e32 v10, 2, v10                              // 0000000043F4: 24141482
	v_add_u32_e32 v10, s60, v10                                // 0000000043F8: 6814143C
	s_mul_i32 s60, 0xc0, s53                                   // 0000000043FC: 923C35FF 000000C0
	s_mul_i32 s60, s2, s60                                     // 000000004404: 923C3C02
	s_mul_i32 s61, s3, s80                                     // 000000004408: 923D5003
	s_mul_i32 s62, s84, s53                                    // 00000000440C: 923E3554
	s_add_u32 s60, s60, s61                                    // 000000004410: 803C3D3C
	v_add_u32_e32 v10, s60, v10                                // 000000004414: 6814143C
	v_lshrrev_b32_e32 v10, 2, v10                              // 000000004418: 20141482
	s_mul_i32 s60, s85, s53                                    // 00000000441C: 923C3555
	s_add_u32 s60, s60, s61                                    // 000000004420: 803C3D3C
	s_lshr_b32 s60, s60, 2                                     // 000000004424: 8F3C823C
	s_mov_b32 s42, s60                                         // 000000004428: BEAA003C
	s_mul_hi_u32 s60, s84, s53                                 // 00000000442C: 963C3554
	s_and_b32 s60, s60, 0xffff                                 // 000000004430: 863CFF3C 0000FFFF
	s_add_u32 s40, s62, s40                                    // 000000004438: 8028283E
	s_addc_u32 s41, s60, s41                                   // 00000000443C: 8229293C
	v_lshrrev_b32_e32 v32, 5, v0                               // 000000004440: 20400085
	v_mul_i32_i24_e32 v6, 0x80, v32                            // 000000004444: 0C0C40FF 00000080
	v_and_b32_e32 v32, 31, v0                                  // 00000000444C: 2640009F
	v_add_u32_e32 v6, v32, v6                                  // 000000004450: 680C0D20
	s_mul_i32 s60, s46, 0x100                                  // 000000004454: 923CFF2E 00000100
	v_add_u32_e32 v6, s60, v6                                  // 00000000445C: 680C0C3C
	v_lshlrev_b32_e32 v6, 2, v6                                // 000000004460: 240C0C82
	v_add_u32_e32 v7, 0x100, v6                                // 000000004464: 680E0CFF 00000100
	v_add_u32_e32 v8, 0x1000, v6                               // 00000000446C: 68100CFF 00001000
	v_add_u32_e32 v9, 0x1000, v7                               // 000000004474: 68120EFF 00001000
	s_mul_i32 s72, 64, s65                                     // 00000000447C: 924841C0
	s_mul_hi_u32 s62, 64, s65                                  // 000000004480: 963E41C0
	s_and_b32 s62, s62, 0xffff                                 // 000000004484: 863EFF3E 0000FFFF
	s_add_u32 s32, s72, s32                                    // 00000000448C: 80202048
	s_addc_u32 s33, s62, s33                                   // 000000004490: 8221213E
	s_mul_i32 s60, 64, s83                                     // 000000004494: 923C53C0
	s_mov_b32 s34, s60                                         // 000000004498: BEA2003C
	v_lshrrev_b32_e32 v6, 2, v6                                // 00000000449C: 200C0C82
	v_lshrrev_b32_e32 v7, 2, v7                                // 0000000044A0: 200E0E82
	v_lshrrev_b32_e32 v8, 2, v8                                // 0000000044A4: 20101082
	v_lshrrev_b32_e32 v9, 2, v9                                // 0000000044A8: 20121282
	s_mul_i32 s60, 3, s2                                       // 0000000044AC: 923C0283
	s_add_u32 s61, s85, 63                                     // 0000000044B0: 803DBF55
	s_lshr_b32 s61, s61, 6                                     // 0000000044B4: 8F3D863D
	s_sub_i32 s73, s61, s60                                    // 0000000044B8: 81C93C3D
	s_cmp_lt_i32 s73, 3                                        // 0000000044BC: BF048349
	s_cselect_b32 s73, s73, 3                                  // 0000000044C0: 85498349
	v_mov_b32_e32 v227, 0xffff0000                             // 0000000044C4: 7FC602FF FFFF0000
	v_mov_b32_e32 v228, 0x7fff0000                             // 0000000044CC: 7FC802FF 7FFF0000
	v_mov_b32_e32 v229, 0x7fff                                 // 0000000044D4: 7FCA02FF 00007FFF
	s_mul_i32 s60, 0xc0, s2                                    // 0000000044DC: 923C02FF 000000C0
	s_sub_i32 s83, s85, s60                                    // 0000000044E4: 81D33C55
	s_lshr_b32 s60, s46, 1                                     // 0000000044E8: 8F3C812E
	s_lshl_b32 s60, s60, 8                                     // 0000000044EC: 8E3C883C
	s_add_u32 s76, 0x9a00, s60                                 // 0000000044F0: 804C3CFF 00009A00
	s_add_u32 s77, 0x200, s76                                  // 0000000044F8: 804D4CFF 00000200
	s_mov_b32 m0, s76                                          // 000000004500: BEFC004C
	v_and_b32_e32 v32, 31, v0                                  // 000000004504: 2640009F
	v_lshrrev_b32_e32 v32, 1, v32                              // 000000004508: 20404081
	v_and_b32_e32 v33, 1, v32                                  // 00000000450C: 26424081
	v_lshlrev_b32_e32 v33, 4, v33                              // 000000004510: 24424284
	v_and_b32_e32 v34, 2, v32                                  // 000000004514: 26444082
	v_lshlrev_b32_e32 v34, 2, v34                              // 000000004518: 24444482
	v_add_u32_e32 v33, v34, v33                                // 00000000451C: 68424322
	v_and_b32_e32 v34, 12, v32                                 // 000000004520: 2644408C
	v_lshrrev_b32_e32 v34, 1, v34                              // 000000004524: 20444481
	v_add_u32_e32 v33, v34, v33                                // 000000004528: 68424322
	v_lshrrev_b32_e32 v32, 5, v0                               // 00000000452C: 20400085
	v_mul_i32_i24_e32 v34, 0x80, v32                           // 000000004530: 0C4440FF 00000080
	v_add_u32_e32 v33, v34, v33                                // 000000004538: 68424322
	v_and_b32_e32 v34, 1, v0                                   // 00000000453C: 26440081
	v_add_u32_e32 v13, v34, v33                                // 000000004540: 681A4322
	s_mul_i32 s60, s46, 32                                     // 000000004544: 923CA02E
	v_add_u32_e32 v13, s60, v13                                // 000000004548: 681A1A3C
	v_lshlrev_b32_e32 v13, 2, v13                              // 00000000454C: 241A1A82
	v_lshrrev_b32_e32 v32, 4, v0                               // 000000004550: 20400084
	v_and_b32_e32 v33, 1, v32                                  // 000000004554: 26424081
	v_lshlrev_b32_e32 v33, 4, v33                              // 000000004558: 24424284
	v_and_b32_e32 v34, 2, v32                                  // 00000000455C: 26444082
	v_mul_i32_i24_e32 v34, 4, v34                              // 000000004560: 0C444484
	v_add_u32_e32 v33, v34, v33                                // 000000004564: 68424322
	v_and_b32_e32 v32, 15, v0                                  // 000000004568: 2640008F
	v_lshrrev_b32_e32 v34, 2, v32                              // 00000000456C: 20444082
	v_lshlrev_b32_e32 v34, 5, v34                              // 000000004570: 24444485
	v_add_u32_e32 v33, v34, v33                                // 000000004574: 68424322
	v_and_b32_e32 v32, 3, v0                                   // 000000004578: 26400083
	v_and_b32_e32 v34, 1, v32                                  // 00000000457C: 26444081
	v_mul_i32_i24_e32 v34, 0x108, v34                          // 000000004580: 0C4444FF 00000108
	v_add_u32_e32 v33, v34, v33                                // 000000004588: 68424322
	v_and_b32_e32 v34, 2, v32                                  // 00000000458C: 26444082
	v_lshlrev_b32_e32 v34, 1, v34                              // 000000004590: 24444481
	v_add_u32_e32 v12, v34, v33                                // 000000004594: 68184322
	v_lshlrev_b32_e32 v12, 2, v12                              // 000000004598: 24181882
	s_mul_i32 s60, s46, 0x880                                  // 00000000459C: 923CFF2E 00000880
	v_add_u32_e32 v24, s60, v12                                // 0000000045A4: 6830183C
	v_lshrrev_b32_e32 v32, 5, v0                               // 0000000045A8: 20400085
	v_mul_i32_i24_e32 v15, 0x80, v32                           // 0000000045AC: 0C1E40FF 00000080
	v_and_b32_e32 v32, 31, v0                                  // 0000000045B4: 2640009F
	v_and_b32_e32 v33, 7, v32                                  // 0000000045B8: 26424087
	v_and_b32_e32 v34, 1, v33                                  // 0000000045BC: 26444281
	v_lshlrev_b32_e32 v34, 2, v34                              // 0000000045C0: 24444482
	v_add_u32_e32 v15, v34, v15                                // 0000000045C4: 681E1F22
	v_and_b32_e32 v34, 2, v33                                  // 0000000045C8: 26444282
	v_lshlrev_b32_e32 v34, 3, v34                              // 0000000045CC: 24444483
	v_add_u32_e32 v15, v34, v15                                // 0000000045D0: 681E1F22
	v_and_b32_e32 v34, 4, v33                                  // 0000000045D4: 26444284
	v_lshlrev_b32_e32 v34, 1, v34                              // 0000000045D8: 24444481
	v_add_u32_e32 v15, v34, v15                                // 0000000045DC: 681E1F22
	v_lshrrev_b32_e32 v33, 3, v32                              // 0000000045E0: 20424083
	v_and_b32_e32 v34, 1, v33                                  // 0000000045E4: 26444281
	v_lshlrev_b32_e32 v34, 1, v34                              // 0000000045E8: 24444481
	v_add_u32_e32 v15, v34, v15                                // 0000000045EC: 681E1F22
	v_and_b32_e32 v34, 2, v33                                  // 0000000045F0: 26444282
	v_lshrrev_b32_e32 v34, 1, v34                              // 0000000045F4: 20444481
	v_add_u32_e32 v15, v34, v15                                // 0000000045F8: 681E1F22
	s_mul_i32 s60, s46, 32                                     // 0000000045FC: 923CA02E
	v_add_u32_e32 v15, s60, v15                                // 000000004600: 681E1E3C
	v_lshlrev_b32_e32 v15, 2, v15                              // 000000004604: 241E1E82
	v_and_b32_e32 v32, 15, v0                                  // 000000004608: 2640008F
	v_and_b32_e32 v34, 1, v32                                  // 00000000460C: 26444081
	v_mul_i32_i24_e32 v14, 0x108, v34                          // 000000004610: 0C1C44FF 00000108
	v_and_b32_e32 v34, 2, v32                                  // 000000004618: 26444082
	v_lshlrev_b32_e32 v34, 1, v34                              // 00000000461C: 24444481
	v_add_u32_e32 v14, v34, v14                                // 000000004620: 681C1D22
	v_and_b32_e32 v34, 4, v32                                  // 000000004624: 26444084
	v_lshlrev_b32_e32 v34, 2, v34                              // 000000004628: 24444482
	v_add_u32_e32 v14, v34, v14                                // 00000000462C: 681C1D22
	v_and_b32_e32 v34, 8, v32                                  // 000000004630: 26444088
	v_add_u32_e32 v14, v34, v14                                // 000000004634: 681C1D22
	v_lshrrev_b32_e32 v32, 4, v0                               // 000000004638: 20400084
	v_and_b32_e32 v34, 1, v32                                  // 00000000463C: 26444081
	v_lshlrev_b32_e32 v34, 5, v34                              // 000000004640: 24444485
	v_add_u32_e32 v14, v34, v14                                // 000000004644: 681C1D22
	v_and_b32_e32 v33, 2, v32                                  // 000000004648: 26424082
	v_mul_i32_i24_e32 v34, 32, v33                             // 00000000464C: 0C4442A0
	v_mul_i32_i24_e32 v33, 0x110, v33                          // 000000004650: 0C4242FF 00000110
	v_add_u32_e32 v25, v33, v14                                // 000000004658: 68321D21
	v_add_u32_e32 v14, v34, v14                                // 00000000465C: 681C1D22
	v_lshlrev_b32_e32 v14, 2, v14                              // 000000004660: 241C1C82
	v_lshlrev_b32_e32 v25, 2, v25                              // 000000004664: 24323282
	s_and_b32 s60, 1, s46                                      // 000000004668: 863C2E81
	s_mul_i32 s60, s60, 0x200                                  // 00000000466C: 923CFF3C 00000200
	v_add_u32_e32 v25, s60, v25                                // 000000004674: 6832323C
	v_lshrrev_b32_e32 v32, 4, v0                               // 000000004678: 20400084
	v_mul_i32_i24_e32 v23, 4, v32                              // 00000000467C: 0C2E4084
	v_and_b32_e32 v33, 3, v0                                   // 000000004680: 26420083
	v_add_u32_e32 v23, v33, v23                                // 000000004684: 682E2F21
	v_lshlrev_b32_e32 v23, 2, v23                              // 000000004688: 242E2E82
	v_lshrrev_b32_e32 v32, 4, v0                               // 00000000468C: 20400084
	v_and_b32_e32 v33, 1, v32                                  // 000000004690: 26424081
	v_mul_i32_i24_e32 v21, 0x100, v33                          // 000000004694: 0C2A42FF 00000100
	v_and_b32_e32 v33, 2, v32                                  // 00000000469C: 26424082
	v_mul_i32_i24_e32 v33, 64, v33                             // 0000000046A0: 0C4242C0
	v_add_u32_e32 v21, v33, v21                                // 0000000046A4: 682A2B21
	v_and_b32_e32 v32, 15, v0                                  // 0000000046A8: 2640008F
	v_mul_i32_i24_e32 v33, 2, v32                              // 0000000046AC: 0C424082
	v_add_u32_e32 v21, v33, v21                                // 0000000046B0: 682A2B21
	s_mul_i32 s60, s46, 32                                     // 0000000046B4: 923CA02E
	v_add_u32_e32 v21, s60, v21                                // 0000000046B8: 682A2A3C
	v_lshlrev_b32_e32 v21, 2, v21                              // 0000000046BC: 242A2A82
	v_lshlrev_b32_e32 v22, 1, v0                               // 0000000046C0: 242C0081
	s_mul_i32 s60, s46, 0x200                                  // 0000000046C4: 923CFF2E 00000200
	v_add_u32_e32 v22, s60, v22                                // 0000000046CC: 682C2C3C
	v_lshlrev_b32_e32 v22, 2, v22                              // 0000000046D0: 242C2C82
	v_lshrrev_b32_e32 v32, 5, v0                               // 0000000046D4: 20400085
	v_mul_i32_i24_e32 v19, 64, v32                             // 0000000046D8: 0C2640C0
	v_and_b32_e32 v32, 31, v0                                  // 0000000046DC: 2640009F
	v_and_b32_e32 v32, 3, v32                                  // 0000000046E0: 26404083
	v_and_b32_e32 v33, 1, v32                                  // 0000000046E4: 26424081
	v_mul_i32_i24_e32 v33, 4, v33                              // 0000000046E8: 0C424284
	v_add_u32_e32 v19, v33, v19                                // 0000000046EC: 68262721
	v_and_b32_e32 v33, 2, v32                                  // 0000000046F0: 26424082
	v_mul_i32_i24_e32 v33, 0x44, v33                           // 0000000046F4: 0C4242FF 00000044
	v_add_u32_e32 v19, v33, v19                                // 0000000046FC: 68262721
	v_and_b32_e32 v32, 31, v0                                  // 000000004700: 2640009F
	v_lshrrev_b32_e32 v32, 2, v32                              // 000000004704: 20404082
	v_lshrrev_b32_e32 v34, 2, v32                              // 000000004708: 20444082
	v_mul_i32_i24_e32 v33, 16, v34                             // 00000000470C: 0C424490
	v_add_u32_e32 v19, v33, v19                                // 000000004710: 68262721
	v_and_b32_e32 v33, 2, v32                                  // 000000004714: 26424082
	v_lshlrev_b32_e32 v33, 4, v33                              // 000000004718: 24424284
	v_add_u32_e32 v19, v33, v19                                // 00000000471C: 68262721
	v_and_b32_e32 v33, 1, v32                                  // 000000004720: 26424081
	v_xor_b32_e32 v33, v34, v33                                // 000000004724: 2A424322
	v_mul_i32_i24_e32 v33, 8, v33                              // 000000004728: 0C424288
	v_add_u32_e32 v19, v33, v19                                // 00000000472C: 68262721
	s_lshr_b32 s60, s46, 1                                     // 000000004730: 8F3C812E
	s_mul_i32 s60, s60, 0x6c0                                  // 000000004734: 923CFF3C 000006C0
	v_add_u32_e32 v19, s60, v19                                // 00000000473C: 6826263C
	v_lshlrev_b32_e32 v19, 2, v19                              // 000000004740: 24262682
	v_lshrrev_b32_e32 v32, 5, v0                               // 000000004744: 20400085
	v_mul_i32_i24_e32 v20, 32, v32                             // 000000004748: 0C2840A0
	v_and_b32_e32 v32, 31, v0                                  // 00000000474C: 2640009F
	v_and_b32_e32 v32, 3, v32                                  // 000000004750: 26404083
	v_and_b32_e32 v33, 1, v32                                  // 000000004754: 26424081
	v_mul_i32_i24_e32 v33, 4, v33                              // 000000004758: 0C424284
	v_add_u32_e32 v20, v33, v20                                // 00000000475C: 68282921
	v_and_b32_e32 v33, 2, v32                                  // 000000004760: 26424082
	v_lshrrev_b32_e32 v33, 1, v33                              // 000000004764: 20424281
	v_add_u32_e32 v20, v33, v20                                // 000000004768: 68282921
	v_and_b32_e32 v32, 31, v0                                  // 00000000476C: 2640009F
	v_lshrrev_b32_e32 v32, 2, v32                              // 000000004770: 20404082
	v_and_b32_e32 v34, 1, v32                                  // 000000004774: 26444081
	v_mul_i32_i24_e32 v33, 16, v34                             // 000000004778: 0C424490
	v_add_u32_e32 v20, v33, v20                                // 00000000477C: 68282921
	v_and_b32_e32 v33, 2, v32                                  // 000000004780: 26424082
	v_add_u32_e32 v20, v33, v20                                // 000000004784: 68282921
	v_lshrrev_b32_e32 v33, 2, v32                              // 000000004788: 20424082
	v_xor_b32_e32 v33, v34, v33                                // 00000000478C: 2A424322
	v_mul_i32_i24_e32 v33, 8, v33                              // 000000004790: 0C424288
	v_add_u32_e32 v20, v33, v20                                // 000000004794: 68282921
	s_and_b32 s60, 1, s46                                      // 000000004798: 863C2E81
	s_mul_i32 s60, s60, 64                                     // 00000000479C: 923CC03C
	s_lshr_b32 s61, s46, 1                                     // 0000000047A0: 8F3D812E
	s_mul_i32 s61, s61, 0x120                                  // 0000000047A4: 923DFF3D 00000120
	s_add_u32 s60, s60, s61                                    // 0000000047AC: 803C3D3C
	v_add_u32_e32 v20, s60, v20                                // 0000000047B0: 6828283C
	v_lshlrev_b32_e32 v20, 2, v20                              // 0000000047B4: 24282882
	buffer_load_dword v178, v1, s[12:15], 0 idxen              // 0000000047B8: E0502000 8003B201
	buffer_load_dword v179, v2, s[12:15], 0 idxen              // 0000000047C0: E0502000 8003B302
	s_mul_i32 s60, 4, s6                                       // 0000000047C8: 923C0684
	s_cmp_lt_i32 0, s73                                        // 0000000047CC: BF044980
	s_cselect_b32 s60, s60, 0                                  // 0000000047D0: 853C803C
	v_add_u32_e32 v1, s60, v1                                  // 0000000047D4: 6802023C
	v_add_u32_e32 v2, s60, v2                                  // 0000000047D8: 6804043C
	buffer_load_dword v180, v1, s[12:15], 0 idxen              // 0000000047DC: E0502000 8003B401
	buffer_load_dword v181, v2, s[12:15], 0 idxen              // 0000000047E4: E0502000 8003B502
	s_mul_i32 s60, 4, s6                                       // 0000000047EC: 923C0684
	s_cmp_lt_i32 0, s73                                        // 0000000047F0: BF044980
	s_cselect_b32 s60, s60, 0                                  // 0000000047F4: 853C803C
	v_add_u32_e32 v1, s60, v1                                  // 0000000047F8: 6802023C
	v_add_u32_e32 v2, s60, v2                                  // 0000000047FC: 6804043C
	buffer_load_dword v182, v1, s[12:15], 0 idxen              // 000000004800: E0502000 8003B601
	buffer_load_dword v183, v2, s[12:15], 0 idxen              // 000000004808: E0502000 8003B702
	s_mul_i32 s60, 4, s6                                       // 000000004810: 923C0684
	s_cmp_lt_i32 0, s73                                        // 000000004814: BF044980
	s_cselect_b32 s60, s60, 0                                  // 000000004818: 853C803C
	v_add_u32_e32 v1, s60, v1                                  // 00000000481C: 6802023C
	v_add_u32_e32 v2, s60, v2                                  // 000000004820: 6804043C
	buffer_load_dword v184, v1, s[12:15], 0 idxen              // 000000004824: E0502000 8003B801
	buffer_load_dword v185, v2, s[12:15], 0 idxen              // 00000000482C: E0502000 8003B902
	s_mul_i32 s60, 4, s6                                       // 000000004834: 923C0684
	s_cmp_lt_i32 1, s73                                        // 000000004838: BF044981
	s_cselect_b32 s60, s60, 0                                  // 00000000483C: 853C803C
	v_add_u32_e32 v1, s60, v1                                  // 000000004840: 6802023C
	v_add_u32_e32 v2, s60, v2                                  // 000000004844: 6804043C
	buffer_load_dword v186, v1, s[12:15], 0 idxen              // 000000004848: E0502000 8003BA01
	buffer_load_dword v187, v2, s[12:15], 0 idxen              // 000000004850: E0502000 8003BB02
	s_mul_i32 s60, 4, s6                                       // 000000004858: 923C0684
	s_cmp_lt_i32 1, s73                                        // 00000000485C: BF044981
	s_cselect_b32 s60, s60, 0                                  // 000000004860: 853C803C
	v_add_u32_e32 v1, s60, v1                                  // 000000004864: 6802023C
	v_add_u32_e32 v2, s60, v2                                  // 000000004868: 6804043C
	buffer_load_dword v188, v1, s[12:15], 0 idxen              // 00000000486C: E0502000 8003BC01
	buffer_load_dword v189, v2, s[12:15], 0 idxen              // 000000004874: E0502000 8003BD02
	s_mul_i32 s60, 4, s6                                       // 00000000487C: 923C0684
	s_cmp_lt_i32 1, s73                                        // 000000004880: BF044981
	s_cselect_b32 s60, s60, 0                                  // 000000004884: 853C803C
	v_add_u32_e32 v1, s60, v1                                  // 000000004888: 6802023C
	v_add_u32_e32 v2, s60, v2                                  // 00000000488C: 6804043C
	buffer_load_dword v190, v1, s[12:15], 0 idxen              // 000000004890: E0502000 8003BE01
	buffer_load_dword v191, v2, s[12:15], 0 idxen              // 000000004898: E0502000 8003BF02
	s_mul_i32 s60, 4, s6                                       // 0000000048A0: 923C0684
	s_cmp_lt_i32 1, s73                                        // 0000000048A4: BF044981
	s_cselect_b32 s60, s60, 0                                  // 0000000048A8: 853C803C
	v_add_u32_e32 v1, s60, v1                                  // 0000000048AC: 6802023C
	v_add_u32_e32 v2, s60, v2                                  // 0000000048B0: 6804043C
	buffer_load_dword v192, v1, s[12:15], 0 idxen              // 0000000048B4: E0502000 8003C001
	buffer_load_dword v193, v2, s[12:15], 0 idxen              // 0000000048BC: E0502000 8003C102
	s_mul_i32 s60, 4, s6                                       // 0000000048C4: 923C0684
	s_cmp_lt_i32 2, s73                                        // 0000000048C8: BF044982
	s_cselect_b32 s60, s60, 0                                  // 0000000048CC: 853C803C
	v_add_u32_e32 v1, s60, v1                                  // 0000000048D0: 6802023C
	v_add_u32_e32 v2, s60, v2                                  // 0000000048D4: 6804043C
	buffer_load_dword v194, v1, s[12:15], 0 idxen              // 0000000048D8: E0502000 8003C201
	buffer_load_dword v195, v2, s[12:15], 0 idxen              // 0000000048E0: E0502000 8003C302
	s_mul_i32 s60, 4, s6                                       // 0000000048E8: 923C0684
	s_cmp_lt_i32 2, s73                                        // 0000000048EC: BF044982
	s_cselect_b32 s60, s60, 0                                  // 0000000048F0: 853C803C
	v_add_u32_e32 v1, s60, v1                                  // 0000000048F4: 6802023C
	v_add_u32_e32 v2, s60, v2                                  // 0000000048F8: 6804043C
	buffer_load_dword v196, v1, s[12:15], 0 idxen              // 0000000048FC: E0502000 8003C401
	buffer_load_dword v197, v2, s[12:15], 0 idxen              // 000000004904: E0502000 8003C502
	s_mul_i32 s60, 4, s6                                       // 00000000490C: 923C0684
	s_cmp_lt_i32 2, s73                                        // 000000004910: BF044982
	s_cselect_b32 s60, s60, 0                                  // 000000004914: 853C803C
	v_add_u32_e32 v1, s60, v1                                  // 000000004918: 6802023C
	v_add_u32_e32 v2, s60, v2                                  // 00000000491C: 6804043C
	buffer_load_dword v198, v1, s[12:15], 0 idxen              // 000000004920: E0502000 8003C601
	buffer_load_dword v199, v2, s[12:15], 0 idxen              // 000000004928: E0502000 8003C702
	s_mul_i32 s60, 4, s6                                       // 000000004930: 923C0684
	s_cmp_lt_i32 2, s73                                        // 000000004934: BF044982
	s_cselect_b32 s60, s60, 0                                  // 000000004938: 853C803C
	v_add_u32_e32 v1, s60, v1                                  // 00000000493C: 6802023C
	v_add_u32_e32 v2, s60, v2                                  // 000000004940: 6804043C
	buffer_load_dword v200, v1, s[12:15], 0 idxen              // 000000004944: E0502000 8003C801
	buffer_load_dword v201, v2, s[12:15], 0 idxen              // 00000000494C: E0502000 8003C902
	s_mul_i32 s60, 4, s6                                       // 000000004954: 923C0684
	s_cmp_lt_i32 3, s73                                        // 000000004958: BF044983
	s_cselect_b32 s60, s60, 0                                  // 00000000495C: 853C803C
	v_add_u32_e32 v1, s60, v1                                  // 000000004960: 6802023C
	v_add_u32_e32 v2, s60, v2                                  // 000000004964: 6804043C
	s_waitcnt vmcnt(16) lgkmcnt(0)                             // 000000004968: BF8C4070
	s_barrier                                                  // 00000000496C: BF8A0000
	s_cmp_lt_i32 0, s73                                        // 000000004970: BF044980
	s_cbranch_scc1 label_02E6                                  // 000000004974: BF850008
	v_mov_b32_e32 v178, 0                                      // 000000004978: 7F640280
	v_mov_b32_e32 v179, 0                                      // 00000000497C: 7F660280
	v_mov_b32_e32 v180, 0                                      // 000000004980: 7F680280
	v_mov_b32_e32 v181, 0                                      // 000000004984: 7F6A0280
	v_mov_b32_e32 v182, 0                                      // 000000004988: 7F6C0280
	v_mov_b32_e32 v183, 0                                      // 00000000498C: 7F6E0280
	v_mov_b32_e32 v184, 0                                      // 000000004990: 7F700280
	v_mov_b32_e32 v185, 0                                      // 000000004994: 7F720280

0000000000004998 <label_02E6>:
	v_perm_b32 v202, v179, v178, s63                           // 000000004998: D1ED00CA 00FF65B3
	v_perm_b32 v203, v179, v178, s64                           // 0000000049A0: D1ED00CB 010365B3
	v_perm_b32 v204, v181, v180, s63                           // 0000000049A8: D1ED00CC 00FF69B5
	v_perm_b32 v205, v181, v180, s64                           // 0000000049B0: D1ED00CD 010369B5
	v_perm_b32 v206, v183, v182, s63                           // 0000000049B8: D1ED00CE 00FF6DB7
	v_perm_b32 v207, v183, v182, s64                           // 0000000049C0: D1ED00CF 01036DB7
	v_perm_b32 v208, v185, v184, s63                           // 0000000049C8: D1ED00D0 00FF71B9
	v_perm_b32 v209, v185, v184, s64                           // 0000000049D0: D1ED00D1 010371B9
	ds_write_b32 v15, v202 offset:8704                         // 0000000049D8: D81A2200 0000CA0F
	ds_write_b32 v15, v203 offset:9760                         // 0000000049E0: D81A2620 0000CB0F
	ds_write_b32 v15, v204 offset:10880                        // 0000000049E8: D81A2A80 0000CC0F
	ds_write_b32 v15, v205 offset:11936                        // 0000000049F0: D81A2EA0 0000CD0F
	ds_write_b32 v15, v206 offset:13056                        // 0000000049F8: D81A3300 0000CE0F
	ds_write_b32 v15, v207 offset:14112                        // 000000004A00: D81A3720 0000CF0F
	ds_write_b32 v15, v208 offset:15232                        // 000000004A08: D81A3B80 0000D00F
	ds_write_b32 v15, v209 offset:16288                        // 000000004A10: D81A3FA0 0000D10F
	ds_write_b32 v13, v178                                     // 000000004A18: D81A0000 0000B20D
	ds_write_b32 v13, v179 offset:1056                         // 000000004A20: D81A0420 0000B30D
	ds_write_b32 v13, v180 offset:2176                         // 000000004A28: D81A0880 0000B40D
	ds_write_b32 v13, v181 offset:3232                         // 000000004A30: D81A0CA0 0000B50D
	ds_write_b32 v13, v182 offset:4352                         // 000000004A38: D81A1100 0000B60D
	ds_write_b32 v13, v183 offset:5408                         // 000000004A40: D81A1520 0000B70D
	ds_write_b32 v13, v184 offset:6528                         // 000000004A48: D81A1980 0000B80D
	ds_write_b32 v13, v185 offset:7584                         // 000000004A50: D81A1DA0 0000B90D
	buffer_load_dword v178, v231, s[16:19], 0 idxen            // 000000004A58: E0502000 8004B2E7
	buffer_load_dword v179, v232, s[16:19], 0 idxen            // 000000004A60: E0502000 8004B3E8
	s_mul_i32 s60, 4, s7                                       // 000000004A68: 923C0784
	s_cmp_lt_i32 0, s73                                        // 000000004A6C: BF044980
	s_cselect_b32 s60, s60, 0                                  // 000000004A70: 853C803C
	v_add_u32_e32 v231, s60, v231                              // 000000004A74: 69CFCE3C
	v_add_u32_e32 v232, s60, v232                              // 000000004A78: 69D1D03C
	buffer_load_dword v180, v231, s[16:19], 0 idxen            // 000000004A7C: E0502000 8004B4E7
	buffer_load_dword v181, v232, s[16:19], 0 idxen            // 000000004A84: E0502000 8004B5E8
	s_mul_i32 s60, 4, s7                                       // 000000004A8C: 923C0784
	s_cmp_lt_i32 0, s73                                        // 000000004A90: BF044980
	s_cselect_b32 s60, s60, 0                                  // 000000004A94: 853C803C
	v_add_u32_e32 v231, s60, v231                              // 000000004A98: 69CFCE3C
	v_add_u32_e32 v232, s60, v232                              // 000000004A9C: 69D1D03C
	buffer_load_dword v182, v231, s[16:19], 0 idxen            // 000000004AA0: E0502000 8004B6E7
	buffer_load_dword v183, v232, s[16:19], 0 idxen            // 000000004AA8: E0502000 8004B7E8
	s_mul_i32 s60, 4, s7                                       // 000000004AB0: 923C0784
	s_cmp_lt_i32 0, s73                                        // 000000004AB4: BF044980
	s_cselect_b32 s60, s60, 0                                  // 000000004AB8: 853C803C
	v_add_u32_e32 v231, s60, v231                              // 000000004ABC: 69CFCE3C
	v_add_u32_e32 v232, s60, v232                              // 000000004AC0: 69D1D03C
	buffer_load_dword v184, v231, s[16:19], 0 idxen            // 000000004AC4: E0502000 8004B8E7
	buffer_load_dword v185, v232, s[16:19], 0 idxen            // 000000004ACC: E0502000 8004B9E8
	s_mul_i32 s60, 4, s7                                       // 000000004AD4: 923C0784
	s_cmp_lt_i32 1, s73                                        // 000000004AD8: BF044981
	s_cselect_b32 s60, s60, 0                                  // 000000004ADC: 853C803C
	v_add_u32_e32 v231, s60, v231                              // 000000004AE0: 69CFCE3C
	v_add_u32_e32 v232, s60, v232                              // 000000004AE4: 69D1D03C
	s_waitcnt lgkmcnt(0)                                       // 000000004AE8: BF8CC07F
	s_barrier                                                  // 000000004AEC: BF8A0000
	ds_read_b128 a[24:27], v25 offset:8704                     // 000000004AF0: DBFE2200 18000019
	ds_read_b128 a[28:31], v25 offset:8960                     // 000000004AF8: DBFE2300 1C000019
	ds_read_b128 a[32:35], v25 offset:13056                    // 000000004B00: DBFE3300 20000019
	ds_read_b128 a[36:39], v25 offset:13312                    // 000000004B08: DBFE3400 24000019
	ds_read_b128 a[0:3], v24                                   // 000000004B10: DBFE0000 00000018
	ds_read_b128 a[4:7], v24 offset:512                        // 000000004B18: DBFE0200 04000018
	s_waitcnt vmcnt(16) lgkmcnt(0)                             // 000000004B20: BF8C4070
	s_barrier                                                  // 000000004B24: BF8A0000
	s_cmp_lt_i32 1, s73                                        // 000000004B28: BF044981
	s_cbranch_scc1 label_0354                                  // 000000004B2C: BF850008
	v_mov_b32_e32 v186, 0                                      // 000000004B30: 7F740280
	v_mov_b32_e32 v187, 0                                      // 000000004B34: 7F760280
	v_mov_b32_e32 v188, 0                                      // 000000004B38: 7F780280
	v_mov_b32_e32 v189, 0                                      // 000000004B3C: 7F7A0280
	v_mov_b32_e32 v190, 0                                      // 000000004B40: 7F7C0280
	v_mov_b32_e32 v191, 0                                      // 000000004B44: 7F7E0280
	v_mov_b32_e32 v192, 0                                      // 000000004B48: 7F800280
	v_mov_b32_e32 v193, 0                                      // 000000004B4C: 7F820280

0000000000004b50 <label_0354>:
	v_perm_b32 v202, v187, v186, s63                           // 000000004B50: D1ED00CA 00FF75BB
	v_perm_b32 v203, v187, v186, s64                           // 000000004B58: D1ED00CB 010375BB
	v_perm_b32 v204, v189, v188, s63                           // 000000004B60: D1ED00CC 00FF79BD
	v_perm_b32 v205, v189, v188, s64                           // 000000004B68: D1ED00CD 010379BD
	v_perm_b32 v206, v191, v190, s63                           // 000000004B70: D1ED00CE 00FF7DBF
	v_perm_b32 v207, v191, v190, s64                           // 000000004B78: D1ED00CF 01037DBF
	v_perm_b32 v208, v193, v192, s63                           // 000000004B80: D1ED00D0 00FF81C1
	v_perm_b32 v209, v193, v192, s64                           // 000000004B88: D1ED00D1 010381C1
	ds_write_b32 v15, v202 offset:8704                         // 000000004B90: D81A2200 0000CA0F
	ds_write_b32 v15, v203 offset:9760                         // 000000004B98: D81A2620 0000CB0F
	ds_write_b32 v15, v204 offset:10880                        // 000000004BA0: D81A2A80 0000CC0F
	ds_write_b32 v15, v205 offset:11936                        // 000000004BA8: D81A2EA0 0000CD0F
	ds_write_b32 v15, v206 offset:13056                        // 000000004BB0: D81A3300 0000CE0F
	ds_write_b32 v15, v207 offset:14112                        // 000000004BB8: D81A3720 0000CF0F
	ds_write_b32 v15, v208 offset:15232                        // 000000004BC0: D81A3B80 0000D00F
	ds_write_b32 v15, v209 offset:16288                        // 000000004BC8: D81A3FA0 0000D10F
	ds_write_b32 v13, v186                                     // 000000004BD0: D81A0000 0000BA0D
	ds_write_b32 v13, v187 offset:1056                         // 000000004BD8: D81A0420 0000BB0D
	ds_write_b32 v13, v188 offset:2176                         // 000000004BE0: D81A0880 0000BC0D
	ds_write_b32 v13, v189 offset:3232                         // 000000004BE8: D81A0CA0 0000BD0D
	ds_write_b32 v13, v190 offset:4352                         // 000000004BF0: D81A1100 0000BE0D
	ds_write_b32 v13, v191 offset:5408                         // 000000004BF8: D81A1520 0000BF0D
	ds_write_b32 v13, v192 offset:6528                         // 000000004C00: D81A1980 0000C00D
	ds_write_b32 v13, v193 offset:7584                         // 000000004C08: D81A1DA0 0000C10D
	buffer_load_dword v186, v231, s[16:19], 0 idxen            // 000000004C10: E0502000 8004BAE7
	buffer_load_dword v187, v232, s[16:19], 0 idxen            // 000000004C18: E0502000 8004BBE8
	s_mul_i32 s60, 4, s7                                       // 000000004C20: 923C0784
	s_cmp_lt_i32 1, s73                                        // 000000004C24: BF044981
	s_cselect_b32 s60, s60, 0                                  // 000000004C28: 853C803C
	v_add_u32_e32 v231, s60, v231                              // 000000004C2C: 69CFCE3C
	v_add_u32_e32 v232, s60, v232                              // 000000004C30: 69D1D03C
	buffer_load_dword v188, v231, s[16:19], 0 idxen            // 000000004C34: E0502000 8004BCE7
	buffer_load_dword v189, v232, s[16:19], 0 idxen            // 000000004C3C: E0502000 8004BDE8
	s_mul_i32 s60, 4, s7                                       // 000000004C44: 923C0784
	s_cmp_lt_i32 1, s73                                        // 000000004C48: BF044981
	s_cselect_b32 s60, s60, 0                                  // 000000004C4C: 853C803C
	v_add_u32_e32 v231, s60, v231                              // 000000004C50: 69CFCE3C
	v_add_u32_e32 v232, s60, v232                              // 000000004C54: 69D1D03C
	buffer_load_dword v190, v231, s[16:19], 0 idxen            // 000000004C58: E0502000 8004BEE7
	buffer_load_dword v191, v232, s[16:19], 0 idxen            // 000000004C60: E0502000 8004BFE8
	s_mul_i32 s60, 4, s7                                       // 000000004C68: 923C0784
	s_cmp_lt_i32 1, s73                                        // 000000004C6C: BF044981
	s_cselect_b32 s60, s60, 0                                  // 000000004C70: 853C803C
	v_add_u32_e32 v231, s60, v231                              // 000000004C74: 69CFCE3C
	v_add_u32_e32 v232, s60, v232                              // 000000004C78: 69D1D03C
	buffer_load_dword v192, v231, s[16:19], 0 idxen            // 000000004C7C: E0502000 8004C0E7
	buffer_load_dword v193, v232, s[16:19], 0 idxen            // 000000004C84: E0502000 8004C1E8
	s_mul_i32 s60, 4, s7                                       // 000000004C8C: 923C0784
	s_cmp_lt_i32 2, s73                                        // 000000004C90: BF044982
	s_cselect_b32 s60, s60, 0                                  // 000000004C94: 853C803C
	v_add_u32_e32 v231, s60, v231                              // 000000004C98: 69CFCE3C
	v_add_u32_e32 v232, s60, v232                              // 000000004C9C: 69D1D03C
	s_waitcnt lgkmcnt(0)                                       // 000000004CA0: BF8CC07F
	s_barrier                                                  // 000000004CA4: BF8A0000
	ds_read_b128 a[40:43], v25 offset:8704                     // 000000004CA8: DBFE2200 28000019
	ds_read_b128 a[44:47], v25 offset:8960                     // 000000004CB0: DBFE2300 2C000019
	ds_read_b128 a[48:51], v25 offset:13056                    // 000000004CB8: DBFE3300 30000019
	ds_read_b128 a[52:55], v25 offset:13312                    // 000000004CC0: DBFE3400 34000019
	ds_read_b128 a[8:11], v24                                  // 000000004CC8: DBFE0000 08000018
	ds_read_b128 a[12:15], v24 offset:512                      // 000000004CD0: DBFE0200 0C000018
	s_waitcnt vmcnt(16) lgkmcnt(0)                             // 000000004CD8: BF8C4070
	s_barrier                                                  // 000000004CDC: BF8A0000
	s_cmp_lt_i32 2, s73                                        // 000000004CE0: BF044982
	s_cbranch_scc1 label_03C2                                  // 000000004CE4: BF850008
	v_mov_b32_e32 v194, 0                                      // 000000004CE8: 7F840280
	v_mov_b32_e32 v195, 0                                      // 000000004CEC: 7F860280
	v_mov_b32_e32 v196, 0                                      // 000000004CF0: 7F880280
	v_mov_b32_e32 v197, 0                                      // 000000004CF4: 7F8A0280
	v_mov_b32_e32 v198, 0                                      // 000000004CF8: 7F8C0280
	v_mov_b32_e32 v199, 0                                      // 000000004CFC: 7F8E0280
	v_mov_b32_e32 v200, 0                                      // 000000004D00: 7F900280
	v_mov_b32_e32 v201, 0                                      // 000000004D04: 7F920280

0000000000004d08 <label_03C2>:
	v_perm_b32 v202, v195, v194, s63                           // 000000004D08: D1ED00CA 00FF85C3
	v_perm_b32 v203, v195, v194, s64                           // 000000004D10: D1ED00CB 010385C3
	v_perm_b32 v204, v197, v196, s63                           // 000000004D18: D1ED00CC 00FF89C5
	v_perm_b32 v205, v197, v196, s64                           // 000000004D20: D1ED00CD 010389C5
	v_perm_b32 v206, v199, v198, s63                           // 000000004D28: D1ED00CE 00FF8DC7
	v_perm_b32 v207, v199, v198, s64                           // 000000004D30: D1ED00CF 01038DC7
	v_perm_b32 v208, v201, v200, s63                           // 000000004D38: D1ED00D0 00FF91C9
	v_perm_b32 v209, v201, v200, s64                           // 000000004D40: D1ED00D1 010391C9
	ds_write_b32 v15, v202 offset:8704                         // 000000004D48: D81A2200 0000CA0F
	ds_write_b32 v15, v203 offset:9760                         // 000000004D50: D81A2620 0000CB0F
	ds_write_b32 v15, v204 offset:10880                        // 000000004D58: D81A2A80 0000CC0F
	ds_write_b32 v15, v205 offset:11936                        // 000000004D60: D81A2EA0 0000CD0F
	ds_write_b32 v15, v206 offset:13056                        // 000000004D68: D81A3300 0000CE0F
	ds_write_b32 v15, v207 offset:14112                        // 000000004D70: D81A3720 0000CF0F
	ds_write_b32 v15, v208 offset:15232                        // 000000004D78: D81A3B80 0000D00F
	ds_write_b32 v15, v209 offset:16288                        // 000000004D80: D81A3FA0 0000D10F
	ds_write_b32 v13, v194                                     // 000000004D88: D81A0000 0000C20D
	ds_write_b32 v13, v195 offset:1056                         // 000000004D90: D81A0420 0000C30D
	ds_write_b32 v13, v196 offset:2176                         // 000000004D98: D81A0880 0000C40D
	ds_write_b32 v13, v197 offset:3232                         // 000000004DA0: D81A0CA0 0000C50D
	ds_write_b32 v13, v198 offset:4352                         // 000000004DA8: D81A1100 0000C60D
	ds_write_b32 v13, v199 offset:5408                         // 000000004DB0: D81A1520 0000C70D
	ds_write_b32 v13, v200 offset:6528                         // 000000004DB8: D81A1980 0000C80D
	ds_write_b32 v13, v201 offset:7584                         // 000000004DC0: D81A1DA0 0000C90D
	buffer_load_dword v194, v231, s[16:19], 0 idxen            // 000000004DC8: E0502000 8004C2E7
	buffer_load_dword v195, v232, s[16:19], 0 idxen            // 000000004DD0: E0502000 8004C3E8
	s_mul_i32 s60, 4, s7                                       // 000000004DD8: 923C0784
	s_cmp_lt_i32 2, s73                                        // 000000004DDC: BF044982
	s_cselect_b32 s60, s60, 0                                  // 000000004DE0: 853C803C
	v_add_u32_e32 v231, s60, v231                              // 000000004DE4: 69CFCE3C
	v_add_u32_e32 v232, s60, v232                              // 000000004DE8: 69D1D03C
	buffer_load_dword v196, v231, s[16:19], 0 idxen            // 000000004DEC: E0502000 8004C4E7
	buffer_load_dword v197, v232, s[16:19], 0 idxen            // 000000004DF4: E0502000 8004C5E8
	s_mul_i32 s60, 4, s7                                       // 000000004DFC: 923C0784
	s_cmp_lt_i32 2, s73                                        // 000000004E00: BF044982
	s_cselect_b32 s60, s60, 0                                  // 000000004E04: 853C803C
	v_add_u32_e32 v231, s60, v231                              // 000000004E08: 69CFCE3C
	v_add_u32_e32 v232, s60, v232                              // 000000004E0C: 69D1D03C
	buffer_load_dword v198, v231, s[16:19], 0 idxen            // 000000004E10: E0502000 8004C6E7
	buffer_load_dword v199, v232, s[16:19], 0 idxen            // 000000004E18: E0502000 8004C7E8
	s_mul_i32 s60, 4, s7                                       // 000000004E20: 923C0784
	s_cmp_lt_i32 2, s73                                        // 000000004E24: BF044982
	s_cselect_b32 s60, s60, 0                                  // 000000004E28: 853C803C
	v_add_u32_e32 v231, s60, v231                              // 000000004E2C: 69CFCE3C
	v_add_u32_e32 v232, s60, v232                              // 000000004E30: 69D1D03C
	buffer_load_dword v200, v231, s[16:19], 0 idxen            // 000000004E34: E0502000 8004C8E7
	buffer_load_dword v201, v232, s[16:19], 0 idxen            // 000000004E3C: E0502000 8004C9E8
	s_mul_i32 s60, 4, s7                                       // 000000004E44: 923C0784
	s_cmp_lt_i32 3, s73                                        // 000000004E48: BF044983
	s_cselect_b32 s60, s60, 0                                  // 000000004E4C: 853C803C
	v_add_u32_e32 v231, s60, v231                              // 000000004E50: 69CFCE3C
	v_add_u32_e32 v232, s60, v232                              // 000000004E54: 69D1D03C
	s_waitcnt lgkmcnt(0)                                       // 000000004E58: BF8CC07F
	s_barrier                                                  // 000000004E5C: BF8A0000
	ds_read_b128 a[56:59], v25 offset:8704                     // 000000004E60: DBFE2200 38000019
	ds_read_b128 a[60:63], v25 offset:8960                     // 000000004E68: DBFE2300 3C000019
	ds_read_b128 a[64:67], v25 offset:13056                    // 000000004E70: DBFE3300 40000019
	ds_read_b128 a[68:71], v25 offset:13312                    // 000000004E78: DBFE3400 44000019
	ds_read_b128 a[16:19], v24                                 // 000000004E80: DBFE0000 10000018
	ds_read_b128 a[20:23], v24 offset:512                      // 000000004E88: DBFE0200 14000018
	s_waitcnt vmcnt(16) lgkmcnt(0)                             // 000000004E90: BF8C4070
	s_barrier                                                  // 000000004E94: BF8A0000
	s_cmp_lt_i32 0, s73                                        // 000000004E98: BF044980
	s_cbranch_scc1 label_0430                                  // 000000004E9C: BF850008
	v_mov_b32_e32 v178, 0                                      // 000000004EA0: 7F640280
	v_mov_b32_e32 v179, 0                                      // 000000004EA4: 7F660280
	v_mov_b32_e32 v180, 0                                      // 000000004EA8: 7F680280
	v_mov_b32_e32 v181, 0                                      // 000000004EAC: 7F6A0280
	v_mov_b32_e32 v182, 0                                      // 000000004EB0: 7F6C0280
	v_mov_b32_e32 v183, 0                                      // 000000004EB4: 7F6E0280
	v_mov_b32_e32 v184, 0                                      // 000000004EB8: 7F700280
	v_mov_b32_e32 v185, 0                                      // 000000004EBC: 7F720280

0000000000004ec0 <label_0430>:
	ds_write_b32 v13, v178                                     // 000000004EC0: D81A0000 0000B20D
	ds_write_b32 v13, v179 offset:1056                         // 000000004EC8: D81A0420 0000B30D
	ds_write_b32 v13, v180 offset:2176                         // 000000004ED0: D81A0880 0000B40D
	ds_write_b32 v13, v181 offset:3232                         // 000000004ED8: D81A0CA0 0000B50D
	ds_write_b32 v13, v182 offset:4352                         // 000000004EE0: D81A1100 0000B60D
	ds_write_b32 v13, v183 offset:5408                         // 000000004EE8: D81A1520 0000B70D
	ds_write_b32 v13, v184 offset:6528                         // 000000004EF0: D81A1980 0000B80D
	ds_write_b32 v13, v185 offset:7584                         // 000000004EF8: D81A1DA0 0000B90D
	s_mov_b32 s71, s5                                          // 000000004F00: BEC70005
	v_lshrrev_b32_e32 v32, 4, v0                               // 000000004F04: 20400084
	v_and_b32_e32 v33, 1, v32                                  // 000000004F08: 26424081
	v_lshlrev_b32_e32 v33, 1, v33                              // 000000004F0C: 24424281
	v_mul_i32_i24_e32 v33, s71, v33                            // 000000004F10: 0C424247
	v_and_b32_e32 v34, 2, v32                                  // 000000004F14: 26444082
	v_lshlrev_b32_e32 v34, 5, v34                              // 000000004F18: 24444485
	v_add_u32_e32 v33, v34, v33                                // 000000004F1C: 68424322
	v_and_b32_e32 v32, 15, v0                                  // 000000004F20: 2640008F
	v_lshlrev_b32_e32 v32, 2, v32                              // 000000004F24: 24404082
	v_add_u32_e32 v1, v32, v33                                 // 000000004F28: 68024320
	s_mul_i32 s60, s46, s71                                    // 000000004F2C: 923C472E
	s_mul_i32 s60, s60, 4                                      // 000000004F30: 923C843C
	v_add_u32_e32 v1, s60, v1                                  // 000000004F34: 6802023C
	v_add_u32_e32 v2, s71, v1                                  // 000000004F38: 68040247
	s_mul_i32 s60, 16, s71                                     // 000000004F3C: 923C4790
	v_add_u32_e32 v3, s60, v1                                  // 000000004F40: 6806023C
	v_add_u32_e32 v4, s60, v2                                  // 000000004F44: 6808043C
	s_mov_b32 s71, s51                                         // 000000004F48: BEC70033
	v_lshrrev_b32_e32 v32, 4, v0                               // 000000004F4C: 20400084
	v_and_b32_e32 v33, 1, v32                                  // 000000004F50: 26424081
	v_lshlrev_b32_e32 v33, 1, v33                              // 000000004F54: 24424281
	v_mul_i32_i24_e32 v33, s71, v33                            // 000000004F58: 0C424247
	v_and_b32_e32 v34, 2, v32                                  // 000000004F5C: 26444082
	v_lshlrev_b32_e32 v34, 5, v34                              // 000000004F60: 24444485
	v_add_u32_e32 v33, v34, v33                                // 000000004F64: 68424322
	v_and_b32_e32 v32, 15, v0                                  // 000000004F68: 2640008F
	v_lshlrev_b32_e32 v32, 2, v32                              // 000000004F6C: 24404082
	v_add_u32_e32 v231, v32, v33                               // 000000004F70: 69CE4320
	s_mul_i32 s60, s46, s71                                    // 000000004F74: 923C472E
	s_mul_i32 s60, s60, 4                                      // 000000004F78: 923C843C
	v_add_u32_e32 v231, s60, v231                              // 000000004F7C: 69CFCE3C
	v_add_u32_e32 v232, s71, v231                              // 000000004F80: 69D1CE47
	s_mul_i32 s60, 16, s71                                     // 000000004F84: 923C4790
	v_add_u32_e32 v233, s60, v231                              // 000000004F88: 69D3CE3C
	v_add_u32_e32 v234, s60, v232                              // 000000004F8C: 69D5D03C
	v_lshrrev_b32_e32 v1, 2, v1                                // 000000004F90: 20020282
	v_lshrrev_b32_e32 v2, 2, v2                                // 000000004F94: 20040482
	v_lshrrev_b32_e32 v3, 2, v3                                // 000000004F98: 20060682
	v_lshrrev_b32_e32 v4, 2, v4                                // 000000004F9C: 20080882
	v_lshrrev_b32_e32 v231, 2, v231                            // 000000004FA0: 21CFCE82
	v_lshrrev_b32_e32 v232, 2, v232                            // 000000004FA4: 21D1D082
	v_lshrrev_b32_e32 v233, 2, v233                            // 000000004FA8: 21D3D282
	v_lshrrev_b32_e32 v234, 2, v234                            // 000000004FAC: 21D5D482
	buffer_load_dword v36, v1, s[8:11], 0 idxen                // 000000004FB0: E0502000 80022401
	buffer_load_dword v37, v2, s[8:11], 0 idxen                // 000000004FB8: E0502000 80022502
	buffer_load_dword v38, v3, s[8:11], 0 idxen                // 000000004FC0: E0502000 80022603
	buffer_load_dword v39, v4, s[8:11], 0 idxen                // 000000004FC8: E0502000 80022704
	buffer_load_dword v44, v231, s[20:23], 0 idxen             // 000000004FD0: E0502000 80052CE7
	buffer_load_dword v45, v232, s[20:23], 0 idxen             // 000000004FD8: E0502000 80052DE8
	buffer_load_dword v46, v233, s[20:23], 0 idxen             // 000000004FE0: E0502000 80052EE9
	buffer_load_dword v47, v234, s[20:23], 0 idxen             // 000000004FE8: E0502000 80052FEA
	s_waitcnt lgkmcnt(0)                                       // 000000004FF0: BF8CC07F
	s_barrier                                                  // 000000004FF4: BF8A0000
	ds_read_b128 a[72:75], v24                                 // 000000004FF8: DBFE0000 48000018
	ds_read_b128 a[76:79], v24 offset:512                      // 000000005000: DBFE0200 4C000018
	v_add_u32_e32 v1, s68, v1                                  // 000000005008: 68020244
	v_add_u32_e32 v2, s68, v2                                  // 00000000500C: 68040444
	v_add_u32_e32 v3, s68, v3                                  // 000000005010: 68060644
	v_add_u32_e32 v4, s68, v4                                  // 000000005014: 68080844
	v_add_u32_e32 v231, s81, v231                              // 000000005018: 69CFCE51
	v_add_u32_e32 v232, s81, v232                              // 00000000501C: 69D1D051
	v_add_u32_e32 v233, s81, v233                              // 000000005020: 69D3D251
	v_add_u32_e32 v234, s81, v234                              // 000000005024: 69D5D451
	s_waitcnt vmcnt(16) lgkmcnt(0)                             // 000000005028: BF8C4070
	s_barrier                                                  // 00000000502C: BF8A0000
	s_cmp_lt_i32 1, s73                                        // 000000005030: BF044981
	s_cbranch_scc1 label_0496                                  // 000000005034: BF850008
	v_mov_b32_e32 v186, 0                                      // 000000005038: 7F740280
	v_mov_b32_e32 v187, 0                                      // 00000000503C: 7F760280
	v_mov_b32_e32 v188, 0                                      // 000000005040: 7F780280
	v_mov_b32_e32 v189, 0                                      // 000000005044: 7F7A0280
	v_mov_b32_e32 v190, 0                                      // 000000005048: 7F7C0280
	v_mov_b32_e32 v191, 0                                      // 00000000504C: 7F7E0280
	v_mov_b32_e32 v192, 0                                      // 000000005050: 7F800280
	v_mov_b32_e32 v193, 0                                      // 000000005054: 7F820280

0000000000005058 <label_0496>:
	ds_write_b32 v13, v186                                     // 000000005058: D81A0000 0000BA0D
	ds_write_b32 v13, v187 offset:1056                         // 000000005060: D81A0420 0000BB0D
	ds_write_b32 v13, v188 offset:2176                         // 000000005068: D81A0880 0000BC0D
	ds_write_b32 v13, v189 offset:3232                         // 000000005070: D81A0CA0 0000BD0D
	ds_write_b32 v13, v190 offset:4352                         // 000000005078: D81A1100 0000BE0D
	ds_write_b32 v13, v191 offset:5408                         // 000000005080: D81A1520 0000BF0D
	ds_write_b32 v13, v192 offset:6528                         // 000000005088: D81A1980 0000C00D
	ds_write_b32 v13, v193 offset:7584                         // 000000005090: D81A1DA0 0000C10D
	buffer_load_dword v40, v1, s[8:11], 0 idxen                // 000000005098: E0502000 80022801
	buffer_load_dword v41, v2, s[8:11], 0 idxen                // 0000000050A0: E0502000 80022902
	buffer_load_dword v42, v3, s[8:11], 0 idxen                // 0000000050A8: E0502000 80022A03
	buffer_load_dword v43, v4, s[8:11], 0 idxen                // 0000000050B0: E0502000 80022B04
	buffer_load_dword v48, v231, s[20:23], 0 idxen             // 0000000050B8: E0502000 800530E7
	buffer_load_dword v49, v232, s[20:23], 0 idxen             // 0000000050C0: E0502000 800531E8
	buffer_load_dword v50, v233, s[20:23], 0 idxen             // 0000000050C8: E0502000 800532E9
	buffer_load_dword v51, v234, s[20:23], 0 idxen             // 0000000050D0: E0502000 800533EA
	s_waitcnt lgkmcnt(0)                                       // 0000000050D8: BF8CC07F
	s_barrier                                                  // 0000000050DC: BF8A0000
	ds_read_b128 a[80:83], v24                                 // 0000000050E0: DBFE0000 50000018
	ds_read_b128 a[84:87], v24 offset:512                      // 0000000050E8: DBFE0200 54000018
	s_add_u32 s60, 64, s59                                     // 0000000050F0: 803C3BC0
	s_cmp_lt_u32 s60, s58                                      // 0000000050F4: BF0A3A3C
	s_cselect_b32 s68, s68, 0                                  // 0000000050F8: 85448044
	s_cselect_b32 s81, s81, 0                                  // 0000000050FC: 85518051
	v_add_u32_e32 v1, s68, v1                                  // 000000005100: 68020244
	v_add_u32_e32 v2, s68, v2                                  // 000000005104: 68040444
	;; [unrolled: 1-line block ×3, first 2 shown]
	v_add_u32_e32 v4, s68, v4                                  // 00000000510C: 68080844
	v_add_u32_e32 v231, s81, v231                              // 000000005110: 69CFCE51
	v_add_u32_e32 v232, s81, v232                              // 000000005114: 69D1D051
	v_add_u32_e32 v233, s81, v233                              // 000000005118: 69D3D251
	v_add_u32_e32 v234, s81, v234                              // 00000000511C: 69D5D451
	s_waitcnt vmcnt(16) lgkmcnt(0)                             // 000000005120: BF8C4070
	s_barrier                                                  // 000000005124: BF8A0000
	s_cmp_lt_i32 2, s73                                        // 000000005128: BF044982
	s_cbranch_scc1 label_04D4                                  // 00000000512C: BF850008
	v_mov_b32_e32 v194, 0                                      // 000000005130: 7F840280
	v_mov_b32_e32 v195, 0                                      // 000000005134: 7F860280
	v_mov_b32_e32 v196, 0                                      // 000000005138: 7F880280
	v_mov_b32_e32 v197, 0                                      // 00000000513C: 7F8A0280
	v_mov_b32_e32 v198, 0                                      // 000000005140: 7F8C0280
	v_mov_b32_e32 v199, 0                                      // 000000005144: 7F8E0280
	v_mov_b32_e32 v200, 0                                      // 000000005148: 7F900280
	v_mov_b32_e32 v201, 0                                      // 00000000514C: 7F920280

0000000000005150 <label_04D4>:
	ds_write_b32 v13, v194                                     // 000000005150: D81A0000 0000C20D
	ds_write_b32 v13, v195 offset:1056                         // 000000005158: D81A0420 0000C30D
	ds_write_b32 v13, v196 offset:2176                         // 000000005160: D81A0880 0000C40D
	ds_write_b32 v13, v197 offset:3232                         // 000000005168: D81A0CA0 0000C50D
	ds_write_b32 v13, v198 offset:4352                         // 000000005170: D81A1100 0000C60D
	ds_write_b32 v13, v199 offset:5408                         // 000000005178: D81A1520 0000C70D
	ds_write_b32 v13, v200 offset:6528                         // 000000005180: D81A1980 0000C80D
	ds_write_b32 v13, v201 offset:7584                         // 000000005188: D81A1DA0 0000C90D
	s_waitcnt lgkmcnt(0)                                       // 000000005190: BF8CC07F
	s_barrier                                                  // 000000005194: BF8A0000
	ds_read_b128 a[88:91], v24                                 // 000000005198: DBFE0000 58000018
	ds_read_b128 a[92:95], v24 offset:512                      // 0000000051A0: DBFE0200 5C000018
	s_waitcnt vmcnt(8) lgkmcnt(0)                              // 0000000051A8: BF8C0078
	s_barrier                                                  // 0000000051AC: BF8A0000
	buffer_load_dword v11, s[24:27], 0 idxen lds               // 0000000051B0: E0512000 8006000B
	s_mov_b32 m0, s77                                          // 0000000051B8: BEFC004D
	v_add_u32_e32 v11, s69, v11                                // 0000000051BC: 68161645
	v_perm_b32 v100, v37, v36, s63                             // 0000000051C0: D1ED0064 00FE4925
	v_perm_b32 v101, v37, v36, s64                             // 0000000051C8: D1ED0065 01024925
	v_perm_b32 v102, v39, v38, s63                             // 0000000051D0: D1ED0066 00FE4D27
	v_perm_b32 v103, v39, v38, s64                             // 0000000051D8: D1ED0067 01024D27
	ds_write_b32 v15, v100 offset:4352                         // 0000000051E0: D81A1100 0000640F
	ds_write_b32 v15, v101 offset:5408                         // 0000000051E8: D81A1520 0000650F
	ds_write_b32 v15, v102 offset:6528                         // 0000000051F0: D81A1980 0000660F
	ds_write_b32 v15, v103 offset:7584                         // 0000000051F8: D81A1DA0 0000670F
	ds_write_b32 v13, v36                                      // 000000005200: D81A0000 0000240D
	ds_write_b32 v13, v37 offset:1056                          // 000000005208: D81A0420 0000250D
	ds_write_b32 v13, v38 offset:2176                          // 000000005210: D81A0880 0000260D
	ds_write_b32 v13, v39 offset:3232                          // 000000005218: D81A0CA0 0000270D
	buffer_load_dword v11, s[24:27], 0 idxen lds               // 000000005220: E0512000 8006000B
	s_add_u32 s60, 64, s59                                     // 000000005228: 803C3BC0
	s_cmp_lt_u32 s60, s58                                      // 00000000522C: BF0A3A3C
	s_cselect_b32 s69, s69, 0                                  // 000000005230: 85458045
	s_mov_b32 m0, s76                                          // 000000005234: BEFC004C
	v_add_u32_e32 v11, s69, v11                                // 000000005238: 68161645
	v_perm_b32 v104, v45, v44, s63                             // 00000000523C: D1ED0068 00FE592D
	v_perm_b32 v105, v45, v44, s64                             // 000000005244: D1ED0069 0102592D
	v_perm_b32 v106, v47, v46, s63                             // 00000000524C: D1ED006A 00FE5D2F
	v_perm_b32 v107, v47, v46, s64                             // 000000005254: D1ED006B 01025D2F
	ds_write_b32 v15, v104 offset:13056                        // 00000000525C: D81A3300 0000680F
	ds_write_b32 v15, v105 offset:14112                        // 000000005264: D81A3720 0000690F
	ds_write_b32 v15, v106 offset:15232                        // 00000000526C: D81A3B80 00006A0F
	ds_write_b32 v15, v107 offset:16288                        // 000000005274: D81A3FA0 00006B0F
	ds_write_b32 v13, v44 offset:8704                          // 00000000527C: D81A2200 00002C0D
	ds_write_b32 v13, v45 offset:9760                          // 000000005284: D81A2620 00002D0D
	ds_write_b32 v13, v46 offset:10880                         // 00000000528C: D81A2A80 00002E0D
	ds_write_b32 v13, v47 offset:11936                         // 000000005294: D81A2EA0 00002F0D
	s_waitcnt vmcnt(1) lgkmcnt(0)                              // 00000000529C: BF8C0071
	s_barrier                                                  // 0000000052A0: BF8A0000
	ds_read_b128 a[96:99], v12                                 // 0000000052A4: DBFE0000 6000000C
	ds_read_b128 a[100:103], v12 offset:512                    // 0000000052AC: DBFE0200 6400000C
	ds_read_b128 a[104:107], v12 offset:2176                   // 0000000052B4: DBFE0880 6800000C
	ds_read_b128 a[108:111], v12 offset:2688                   // 0000000052BC: DBFE0A80 6C00000C
	ds_read_b128 v[108:111], v12 offset:8704                   // 0000000052C4: D9FE2200 6C00000C
	ds_read_b128 v[112:115], v12 offset:9216                   // 0000000052CC: D9FE2400 7000000C
	ds_read_b128 v[116:119], v12 offset:10880                  // 0000000052D4: D9FE2A80 7400000C
	ds_read_b128 v[120:123], v12 offset:11392                  // 0000000052DC: D9FE2C80 7800000C
	ds_read_b32 v140, v23 offset:39424                         // 0000000052E4: D86C9A00 8C000017
	ds_read_b32 v144, v23 offset:39488                         // 0000000052EC: D86C9A40 90000017
	ds_read_b32 v176, v23 offset:39680                         // 0000000052F4: D86C9B00 B0000017
	ds_read_b32 v177, v23 offset:39744                         // 0000000052FC: D86C9B40 B1000017
	v_accvgpr_write_b32 a112, 0                                // 000000005304: D3D94070 18000080
	v_mov_b32_e32 v178, 0                                      // 00000000530C: 7F640280
	v_accvgpr_write_b32 a113, 0                                // 000000005310: D3D94071 18000080
	v_mov_b32_e32 v179, 0                                      // 000000005318: 7F660280
	v_accvgpr_write_b32 a114, 0                                // 00000000531C: D3D94072 18000080
	v_mov_b32_e32 v180, 0                                      // 000000005324: 7F680280
	v_accvgpr_write_b32 a115, 0                                // 000000005328: D3D94073 18000080
	v_mov_b32_e32 v181, 0                                      // 000000005330: 7F6A0280
	v_accvgpr_write_b32 a116, 0                                // 000000005334: D3D94074 18000080
	v_mov_b32_e32 v182, 0                                      // 00000000533C: 7F6C0280
	v_accvgpr_write_b32 a117, 0                                // 000000005340: D3D94075 18000080
	v_mov_b32_e32 v183, 0                                      // 000000005348: 7F6E0280
	v_accvgpr_write_b32 a118, 0                                // 00000000534C: D3D94076 18000080
	v_mov_b32_e32 v184, 0                                      // 000000005354: 7F700280
	v_accvgpr_write_b32 a119, 0                                // 000000005358: D3D94077 18000080
	v_mov_b32_e32 v185, 0                                      // 000000005360: 7F720280
	v_accvgpr_write_b32 a120, 0                                // 000000005364: D3D94078 18000080
	v_mov_b32_e32 v186, 0                                      // 00000000536C: 7F740280
	v_accvgpr_write_b32 a121, 0                                // 000000005370: D3D94079 18000080
	v_mov_b32_e32 v187, 0                                      // 000000005378: 7F760280
	v_accvgpr_write_b32 a122, 0                                // 00000000537C: D3D9407A 18000080
	v_mov_b32_e32 v188, 0                                      // 000000005384: 7F780280
	v_accvgpr_write_b32 a123, 0                                // 000000005388: D3D9407B 18000080
	v_mov_b32_e32 v189, 0                                      // 000000005390: 7F7A0280
	v_accvgpr_write_b32 a124, 0                                // 000000005394: D3D9407C 18000080
	v_mov_b32_e32 v190, 0                                      // 00000000539C: 7F7C0280
	v_accvgpr_write_b32 a125, 0                                // 0000000053A0: D3D9407D 18000080
	v_mov_b32_e32 v191, 0                                      // 0000000053A8: 7F7E0280
	v_accvgpr_write_b32 a126, 0                                // 0000000053AC: D3D9407E 18000080
	v_mov_b32_e32 v192, 0                                      // 0000000053B4: 7F800280
	v_accvgpr_write_b32 a127, 0                                // 0000000053B8: D3D9407F 18000080
	v_mov_b32_e32 v193, 0                                      // 0000000053C0: 7F820280
	v_accvgpr_write_b32 a128, 0                                // 0000000053C4: D3D94080 18000080
	v_mov_b32_e32 v194, 0                                      // 0000000053CC: 7F840280
	v_accvgpr_write_b32 a129, 0                                // 0000000053D0: D3D94081 18000080
	v_mov_b32_e32 v195, 0                                      // 0000000053D8: 7F860280
	v_accvgpr_write_b32 a130, 0                                // 0000000053DC: D3D94082 18000080
	v_mov_b32_e32 v196, 0                                      // 0000000053E4: 7F880280
	v_accvgpr_write_b32 a131, 0                                // 0000000053E8: D3D94083 18000080
	v_mov_b32_e32 v197, 0                                      // 0000000053F0: 7F8A0280
	v_accvgpr_write_b32 a132, 0                                // 0000000053F4: D3D94084 18000080
	v_mov_b32_e32 v198, 0                                      // 0000000053FC: 7F8C0280
	v_accvgpr_write_b32 a133, 0                                // 000000005400: D3D94085 18000080
	v_mov_b32_e32 v199, 0                                      // 000000005408: 7F8E0280
	v_accvgpr_write_b32 a134, 0                                // 00000000540C: D3D94086 18000080
	v_mov_b32_e32 v200, 0                                      // 000000005414: 7F900280
	v_accvgpr_write_b32 a135, 0                                // 000000005418: D3D94087 18000080
	v_mov_b32_e32 v201, 0                                      // 000000005420: 7F920280
	v_accvgpr_write_b32 a136, 0                                // 000000005424: D3D94088 18000080
	v_mov_b32_e32 v202, 0                                      // 00000000542C: 7F940280
	v_accvgpr_write_b32 a137, 0                                // 000000005430: D3D94089 18000080
	v_mov_b32_e32 v203, 0                                      // 000000005438: 7F960280
	v_accvgpr_write_b32 a138, 0                                // 00000000543C: D3D9408A 18000080
	v_mov_b32_e32 v204, 0                                      // 000000005444: 7F980280
	v_accvgpr_write_b32 a139, 0                                // 000000005448: D3D9408B 18000080
	v_mov_b32_e32 v205, 0                                      // 000000005450: 7F9A0280
	v_accvgpr_write_b32 a140, 0                                // 000000005454: D3D9408C 18000080
	v_mov_b32_e32 v206, 0                                      // 00000000545C: 7F9C0280
	v_accvgpr_write_b32 a141, 0                                // 000000005460: D3D9408D 18000080
	v_mov_b32_e32 v207, 0                                      // 000000005468: 7F9E0280
	v_accvgpr_write_b32 a142, 0                                // 00000000546C: D3D9408E 18000080
	v_mov_b32_e32 v208, 0                                      // 000000005474: 7FA00280
	v_accvgpr_write_b32 a143, 0                                // 000000005478: D3D9408F 18000080
	v_mov_b32_e32 v209, 0                                      // 000000005480: 7FA20280
	v_accvgpr_write_b32 a144, 0                                // 000000005484: D3D94090 18000080
	v_mov_b32_e32 v210, 0                                      // 00000000548C: 7FA40280
	v_accvgpr_write_b32 a145, 0                                // 000000005490: D3D94091 18000080
	v_mov_b32_e32 v211, 0                                      // 000000005498: 7FA60280
	v_accvgpr_write_b32 a146, 0                                // 00000000549C: D3D94092 18000080
	v_mov_b32_e32 v212, 0                                      // 0000000054A4: 7FA80280
	v_accvgpr_write_b32 a147, 0                                // 0000000054A8: D3D94093 18000080
	v_mov_b32_e32 v213, 0                                      // 0000000054B0: 7FAA0280
	v_accvgpr_write_b32 a148, 0                                // 0000000054B4: D3D94094 18000080
	v_mov_b32_e32 v214, 0                                      // 0000000054BC: 7FAC0280
	v_accvgpr_write_b32 a149, 0                                // 0000000054C0: D3D94095 18000080
	v_mov_b32_e32 v215, 0                                      // 0000000054C8: 7FAE0280
	v_accvgpr_write_b32 a150, 0                                // 0000000054CC: D3D94096 18000080
	v_mov_b32_e32 v216, 0                                      // 0000000054D4: 7FB00280
	v_accvgpr_write_b32 a151, 0                                // 0000000054D8: D3D94097 18000080
	v_mov_b32_e32 v217, 0                                      // 0000000054E0: 7FB20280
	v_accvgpr_write_b32 a152, 0                                // 0000000054E4: D3D94098 18000080
	v_mov_b32_e32 v218, 0                                      // 0000000054EC: 7FB40280
	v_accvgpr_write_b32 a153, 0                                // 0000000054F0: D3D94099 18000080
	v_mov_b32_e32 v219, 0                                      // 0000000054F8: 7FB60280
	v_accvgpr_write_b32 a154, 0                                // 0000000054FC: D3D9409A 18000080
	v_mov_b32_e32 v220, 0                                      // 000000005504: 7FB80280
	v_accvgpr_write_b32 a155, 0                                // 000000005508: D3D9409B 18000080
	v_mov_b32_e32 v221, 0                                      // 000000005510: 7FBA0280
	v_accvgpr_write_b32 a156, 0                                // 000000005514: D3D9409C 18000080
	v_mov_b32_e32 v222, 0                                      // 00000000551C: 7FBC0280
	v_accvgpr_write_b32 a157, 0                                // 000000005520: D3D9409D 18000080
	v_mov_b32_e32 v223, 0                                      // 000000005528: 7FBE0280
	v_accvgpr_write_b32 a158, 0                                // 00000000552C: D3D9409E 18000080
	v_mov_b32_e32 v224, 0                                      // 000000005534: 7FC00280
	v_accvgpr_write_b32 a159, 0                                // 000000005538: D3D9409F 18000080
	v_mov_b32_e32 v225, 0                                      // 000000005540: 7FC20280
	v_mov_b32_e32 v156, 0                                      // 000000005544: 7F380280
	v_mov_b32_e32 v157, 0                                      // 000000005548: 7F3A0280
	v_mov_b32_e32 v158, 0                                      // 00000000554C: 7F3C0280
	v_mov_b32_e32 v159, 0                                      // 000000005550: 7F3E0280
	v_mov_b32_e32 v160, 0                                      // 000000005554: 7F400280
	v_mov_b32_e32 v161, 0                                      // 000000005558: 7F420280
	v_mov_b32_e32 v162, 0                                      // 00000000555C: 7F440280
	v_mov_b32_e32 v163, 0                                      // 000000005560: 7F460280
	v_mov_b32_e32 v148, 0                                      // 000000005564: 7F280280
	v_mov_b32_e32 v149, 0                                      // 000000005568: 7F2A0280
	v_mov_b32_e32 v150, 0                                      // 00000000556C: 7F2C0280
	v_mov_b32_e32 v151, 0                                      // 000000005570: 7F2E0280
	v_mov_b32_e32 v152, 0                                      // 000000005574: 7F300280
	v_mov_b32_e32 v153, 0                                      // 000000005578: 7F320280
	v_mov_b32_e32 v154, 0                                      // 00000000557C: 7F340280
	v_mov_b32_e32 v155, 0                                      // 000000005580: 7F360280
	s_waitcnt lgkmcnt(0)                                       // 000000005584: BF8CC07F
	s_barrier                                                  // 000000005588: BF8A0000
	buffer_load_dword v36, v1, s[8:11], 0 idxen                // 00000000558C: E0502000 80022401
	buffer_load_dword v37, v2, s[8:11], 0 idxen                // 000000005594: E0502000 80022502
	buffer_load_dword v38, v3, s[8:11], 0 idxen                // 00000000559C: E0502000 80022603
	buffer_load_dword v39, v4, s[8:11], 0 idxen                // 0000000055A4: E0502000 80022704
	buffer_load_dword v44, v231, s[20:23], 0 idxen             // 0000000055AC: E0502000 80052CE7
	buffer_load_dword v45, v232, s[20:23], 0 idxen             // 0000000055B4: E0502000 80052DE8
	buffer_load_dword v46, v233, s[20:23], 0 idxen             // 0000000055BC: E0502000 80052EE9
	buffer_load_dword v47, v234, s[20:23], 0 idxen             // 0000000055C4: E0502000 80052FEA
	buffer_load_dword v11, s[24:27], 0 idxen lds               // 0000000055CC: E0512000 8006000B
	s_add_u32 s60, 0x60, s59                                   // 0000000055D4: 803C3BFF 00000060
	s_cmp_lt_u32 s60, s58                                      // 0000000055DC: BF0A3A3C
	s_cselect_b32 s68, s68, 0                                  // 0000000055E0: 85448044
	s_cselect_b32 s81, s81, 0                                  // 0000000055E4: 85518051
	s_cselect_b32 s69, s69, 0                                  // 0000000055E8: 85458045
	s_mov_b32 m0, s77                                          // 0000000055EC: BEFC004D
	v_add_u32_e32 v11, s69, v11                                // 0000000055F0: 68161645
	v_add_u32_e32 v1, s68, v1                                  // 0000000055F4: 68020244
	v_add_u32_e32 v2, s68, v2                                  // 0000000055F8: 68040444
	v_add_u32_e32 v3, s68, v3                                  // 0000000055FC: 68060644
	v_add_u32_e32 v4, s68, v4                                  // 000000005600: 68080844
	v_add_u32_e32 v231, s81, v231                              // 000000005604: 69CFCE51
	v_add_u32_e32 v232, s81, v232                              // 000000005608: 69D1D051
	v_add_u32_e32 v233, s81, v233                              // 00000000560C: 69D3D251
	v_add_u32_e32 v234, s81, v234                              // 000000005610: 69D5D451
	v_mul_f32_e32 v140, s48, v140                              // 000000005614: 0B191830
	v_mul_f32_e32 v144, s48, v144                              // 000000005618: 0B212030
	v_perm_b32 v100, v41, v40, s63                             // 00000000561C: D1ED0064 00FE5129
	v_perm_b32 v101, v41, v40, s64                             // 000000005624: D1ED0065 01025129
	v_perm_b32 v102, v43, v42, s63                             // 00000000562C: D1ED0066 00FE552B
	v_perm_b32 v103, v43, v42, s64                             // 000000005634: D1ED0067 0102552B
	v_perm_b32 v104, v49, v48, s63                             // 00000000563C: D1ED0068 00FE6131
	v_perm_b32 v105, v49, v48, s64                             // 000000005644: D1ED0069 01026131
	v_perm_b32 v106, v51, v50, s63                             // 00000000564C: D1ED006A 00FE6533
	v_perm_b32 v107, v51, v50, s64                             // 000000005654: D1ED006B 01026533
	v_mov_b32_dpp v143, v140 quad_perm:[3,3,3,3] row_mask:0xf bank_mask:0xf// 00000000565C: 7F1E02FA FF00FF8C
	v_mov_b32_dpp v142, v140 quad_perm:[2,2,2,2] row_mask:0xf bank_mask:0xf// 000000005664: 7F1C02FA FF00AA8C
	v_mov_b32_dpp v141, v140 quad_perm:[1,1,1,1] row_mask:0xf bank_mask:0xf// 00000000566C: 7F1A02FA FF00558C
	v_mov_b32_dpp v140, v140 quad_perm:[0,0,0,0] row_mask:0xf bank_mask:0xf// 000000005674: 7F1802FA FF00008C
	v_mov_b32_dpp v147, v144 quad_perm:[3,3,3,3] row_mask:0xf bank_mask:0xf// 00000000567C: 7F2602FA FF00FF90
	v_mov_b32_dpp v146, v144 quad_perm:[2,2,2,2] row_mask:0xf bank_mask:0xf// 000000005684: 7F2402FA FF00AA90
	v_mov_b32_dpp v145, v144 quad_perm:[1,1,1,1] row_mask:0xf bank_mask:0xf// 00000000568C: 7F2202FA FF005590
	v_mov_b32_dpp v144, v144 quad_perm:[0,0,0,0] row_mask:0xf bank_mask:0xf// 000000005694: 7F2002FA FF000090
	s_waitcnt vmcnt(9)                                         // 00000000569C: BF8C0F79
	s_barrier                                                  // 0000000056A0: BF8A0000
	s_cmp_lt_i32 s46, 2                                        // 0000000056A4: BF04822E
	s_cbranch_scc0 label_0FF5                                  // 0000000056A8: BF8409B8
	s_nop 0                                                    // 0000000056AC: BF800000
	s_nop 0                                                    // 0000000056B0: BF800000

00000000000056b4 <label_062D>:
	s_waitcnt lgkmcnt(4)                                       // 0000000056B4: BF8CC47F
	s_barrier                                                  // 0000000056B8: BF8A0000
	v_mfma_f32_16x16x16_bf16 v[52:55], a[96:97], a[0:1], 0     // 0000000056BC: D3E10034 1A020160
	ds_write_b32 v13, v48 offset:8704                          // 0000000056C4: D81A2200 0000300D
	ds_write_b32 v13, v49 offset:9760                          // 0000000056CC: D81A2620 0000310D
	v_mfma_f32_16x16x16_bf16 v[52:55], a[98:99], a[2:3], v[52:55]// 0000000056D4: D3E10034 1CD20562
	v_mul_f32_e32 v148, s47, v148                              // 0000000056DC: 0B29282F
	v_mul_f32_e32 v149, s47, v149                              // 0000000056E0: 0B2B2A2F
	v_mfma_f32_16x16x16_bf16 v[52:55], a[100:101], a[4:5], v[52:55]// 0000000056E4: D3E10034 1CD20964
	ds_write_b32 v13, v50 offset:10880                         // 0000000056EC: D81A2A80 0000320D
	ds_write_b32 v13, v51 offset:11936                         // 0000000056F4: D81A2EA0 0000330D
	v_mfma_f32_16x16x16_bf16 v[52:55], a[102:103], a[6:7], v[52:55]// 0000000056FC: D3E10034 1CD20D66
	v_mul_f32_e32 v150, s47, v150                              // 000000005704: 0B2D2C2F
	v_mul_f32_e32 v151, s47, v151                              // 000000005708: 0B2F2E2F
	v_mfma_f32_16x16x16_bf16 v[56:59], a[96:97], a[8:9], 0     // 00000000570C: D3E10038 1A021160
	ds_write_b64 v22, v[148:149] offset:31232                  // 000000005714: D89A7A00 00009416
	v_mfma_f32_16x16x16_bf16 v[56:59], a[98:99], a[10:11], v[56:59]// 00000000571C: D3E10038 1CE21562
	v_mul_f32_e32 v152, s47, v152                              // 000000005724: 0B31302F
	v_mul_f32_e32 v153, s47, v153                              // 000000005728: 0B33322F
	v_mfma_f32_16x16x16_bf16 v[56:59], a[100:101], a[12:13], v[56:59]// 00000000572C: D3E10038 1CE21964
	ds_write_b64 v22, v[150:151] offset:31744                  // 000000005734: D89A7C00 00009616
	v_mfma_f32_16x16x16_bf16 v[56:59], a[102:103], a[14:15], v[56:59]// 00000000573C: D3E10038 1CE21D66
	v_mul_f32_e32 v154, s47, v154                              // 000000005744: 0B35342F
	v_mul_f32_e32 v155, s47, v155                              // 000000005748: 0B37362F
	v_mfma_f32_16x16x16_bf16 v[60:63], a[96:97], a[16:17], 0   // 00000000574C: D3E1003C 1A022160
	ds_write_b64 v22, v[152:153] offset:32256                  // 000000005754: D89A7E00 00009816
	v_mfma_f32_16x16x16_bf16 v[60:63], a[98:99], a[18:19], v[60:63]// 00000000575C: D3E1003C 1CF22562
	buffer_atomic_add_f32 v160, v8, s[32:35], 0 idxen          // 000000005764: E1342000 8008A008
	v_mfma_f32_16x16x16_bf16 v[60:63], a[100:101], a[20:21], v[60:63]// 00000000576C: D3E1003C 1CF22964
	ds_write_b64 v22, v[154:155] offset:32768                  // 000000005774: D89A8000 00009A16
	v_mfma_f32_16x16x16_bf16 v[60:63], a[102:103], a[22:23], v[60:63]// 00000000577C: D3E1003C 1CF22D66
	v_mfma_f32_16x16x16_bf16 v[64:67], a[104:105], a[0:1], 0   // 000000005784: D3E10040 1A020168
	ds_read_b128 v[124:127], v14 offset:13056                  // 00000000578C: D9FE3300 7C00000E
	ds_write_b32 v13, v40                                      // 000000005794: D81A0000 0000280D
	v_mfma_f32_16x16x16_bf16 v[64:67], a[106:107], a[2:3], v[64:67]// 00000000579C: D3E10040 1D02056A
	buffer_atomic_add_f32 v161, v9, s[32:35], 0 idxen          // 0000000057A4: E1342000 8008A109
	v_mfma_f32_16x16x16_bf16 v[64:67], a[108:109], a[4:5], v[64:67]// 0000000057AC: D3E10040 1D02096C
	v_mfma_f32_16x16x16_bf16 v[64:67], a[110:111], a[6:7], v[64:67]// 0000000057B4: D3E10040 1D020D6E
	ds_read_b128 v[128:131], v14 offset:13568                  // 0000000057BC: D9FE3500 8000000E
	ds_write_b32 v13, v41 offset:1056                          // 0000000057C4: D81A0420 0000290D
	v_mfma_f32_16x16x16_bf16 v[68:71], a[104:105], a[8:9], 0   // 0000000057CC: D3E10044 1A021168
	buffer_atomic_add_f32 v162, v8, s[32:35], 0 idxen offset:128// 0000000057D4: E1342080 8008A208
	v_mfma_f32_16x16x16_bf16 v[68:71], a[106:107], a[10:11], v[68:71]// 0000000057DC: D3E10044 1D12156A
	v_mfma_f32_16x16x16_bf16 v[68:71], a[108:109], a[12:13], v[68:71]// 0000000057E4: D3E10044 1D12196C
	ds_read_b128 v[132:135], v14 offset:15232                  // 0000000057EC: D9FE3B80 8400000E
	ds_write_b32 v13, v42 offset:2176                          // 0000000057F4: D81A0880 00002A0D
	v_mfma_f32_16x16x16_bf16 v[68:71], a[110:111], a[14:15], v[68:71]// 0000000057FC: D3E10044 1D121D6E
	v_mfma_f32_16x16x16_bf16 v[72:75], a[104:105], a[16:17], 0 // 000000005804: D3E10048 1A022168
	buffer_atomic_add_f32 v163, v9, s[32:35], 0 idxen offset:128// 00000000580C: E1342080 8008A309
	v_mfma_f32_16x16x16_bf16 v[72:75], a[106:107], a[18:19], v[72:75]// 000000005814: D3E10048 1D22256A
	ds_read_b128 v[136:139], v14 offset:15744                  // 00000000581C: D9FE3D80 8800000E
	ds_write_b32 v13, v43 offset:3232                          // 000000005824: D81A0CA0 00002B0D
	v_mfma_f32_16x16x16_bf16 v[72:75], a[108:109], a[20:21], v[72:75]// 00000000582C: D3E10048 1D22296C
	v_mfma_f32_16x16x16_bf16 v[72:75], a[110:111], a[22:23], v[72:75]// 000000005834: D3E10048 1D222D6E
	s_cmp_lt_i32 s83, 0xc0                                     // 00000000583C: BF04FF53 000000C0
	s_cbranch_scc0 label_0708                                  // 000000005844: BF84006D
	s_cmp_le_i32 s83, 64                                       // 000000005848: BF05C053
	s_cbranch_scc1 label_069B                                  // 00000000584C: BF850007
	s_cmp_le_i32 s83, 0x80                                     // 000000005850: BF05FF53 00000080
	s_cbranch_scc1 label_06BF                                  // 000000005858: BF85001F
	s_cmp_lt_i32 s83, 0xc0                                     // 00000000585C: BF04FF53 000000C0
	s_cbranch_scc1 label_06E3                                  // 000000005864: BF850040
	s_branch label_0708                                        // 000000005868: BF820064

000000000000586c <label_069B>:
	s_mov_b32 s60, 0                                           // 00000000586C: BEBC0080
	v_and_b32_e32 v32, 15, v0                                  // 000000005870: 2640008F
	v_add_u32_e64 v32, v32, s60                                // 000000005874: D1340020 00007920
	v_mul_i32_i24_e64 v33, s46, 16                             // 00000000587C: D1060021 0001202E
	v_add_u32_e32 v32, v32, v33                                // 000000005884: 68404320
	v_cmp_lt_u32_e64 s[60:61], v32, s83                        // 000000005888: D0C9003C 0000A720
	s_nop 1                                                    // 000000005890: BF800001
	v_cndmask_b32_e64 v52, v230, v52, s[60:61]                 // 000000005894: D1000034 00F269E6
	v_cndmask_b32_e64 v64, v230, v64, s[60:61]                 // 00000000589C: D1000040 00F281E6
	v_cndmask_b32_e64 v53, v230, v53, s[60:61]                 // 0000000058A4: D1000035 00F26BE6
	v_cndmask_b32_e64 v65, v230, v65, s[60:61]                 // 0000000058AC: D1000041 00F283E6
	v_cndmask_b32_e64 v54, v230, v54, s[60:61]                 // 0000000058B4: D1000036 00F26DE6
	v_cndmask_b32_e64 v66, v230, v66, s[60:61]                 // 0000000058BC: D1000042 00F285E6
	v_cndmask_b32_e64 v55, v230, v55, s[60:61]                 // 0000000058C4: D1000037 00F26FE6
	v_cndmask_b32_e64 v67, v230, v67, s[60:61]                 // 0000000058CC: D1000043 00F287E6
	s_branch label_06DA                                        // 0000000058D4: BF82001B

00000000000058d8 <label_06BF>:
	s_mov_b32 s60, 64                                          // 0000000058D8: BEBC00C0
	v_and_b32_e32 v32, 15, v0                                  // 0000000058DC: 2640008F
	v_add_u32_e64 v32, v32, s60                                // 0000000058E0: D1340020 00007920
	v_mul_i32_i24_e64 v33, s46, 16                             // 0000000058E8: D1060021 0001202E
	v_add_u32_e32 v32, v32, v33                                // 0000000058F0: 68404320
	v_cmp_lt_u32_e64 s[60:61], v32, s83                        // 0000000058F4: D0C9003C 0000A720
	s_nop 1                                                    // 0000000058FC: BF800001
	v_cndmask_b32_e64 v56, v230, v56, s[60:61]                 // 000000005900: D1000038 00F271E6
	v_cndmask_b32_e64 v68, v230, v68, s[60:61]                 // 000000005908: D1000044 00F289E6
	v_cndmask_b32_e64 v57, v230, v57, s[60:61]                 // 000000005910: D1000039 00F273E6
	v_cndmask_b32_e64 v69, v230, v69, s[60:61]                 // 000000005918: D1000045 00F28BE6
	v_cndmask_b32_e64 v58, v230, v58, s[60:61]                 // 000000005920: D100003A 00F275E6
	v_cndmask_b32_e64 v70, v230, v70, s[60:61]                 // 000000005928: D1000046 00F28DE6
	v_cndmask_b32_e64 v59, v230, v59, s[60:61]                 // 000000005930: D100003B 00F277E6
	v_cndmask_b32_e64 v71, v230, v71, s[60:61]                 // 000000005938: D1000047 00F28FE6
	s_branch label_06FF                                        // 000000005940: BF820025

0000000000005944 <label_06DA>:
	v_mov_b32_e32 v56, v230                                    // 000000005944: 7E7003E6
	v_mov_b32_e32 v68, v230                                    // 000000005948: 7E8803E6
	v_mov_b32_e32 v57, v230                                    // 00000000594C: 7E7203E6
	v_mov_b32_e32 v69, v230                                    // 000000005950: 7E8A03E6
	v_mov_b32_e32 v58, v230                                    // 000000005954: 7E7403E6
	v_mov_b32_e32 v70, v230                                    // 000000005958: 7E8C03E6
	v_mov_b32_e32 v59, v230                                    // 00000000595C: 7E7603E6
	v_mov_b32_e32 v71, v230                                    // 000000005960: 7E8E03E6
	s_branch label_06FF                                        // 000000005964: BF82001C

0000000000005968 <label_06E3>:
	s_mov_b32 s60, 0x80                                        // 000000005968: BEBC00FF 00000080
	v_and_b32_e32 v32, 15, v0                                  // 000000005970: 2640008F
	v_add_u32_e64 v32, v32, s60                                // 000000005974: D1340020 00007920
	v_mul_i32_i24_e64 v33, s46, 16                             // 00000000597C: D1060021 0001202E
	v_add_u32_e32 v32, v32, v33                                // 000000005984: 68404320
	v_cmp_lt_u32_e64 s[60:61], v32, s83                        // 000000005988: D0C9003C 0000A720
	s_nop 1                                                    // 000000005990: BF800001
	v_cndmask_b32_e64 v60, v230, v60, s[60:61]                 // 000000005994: D100003C 00F279E6
	v_cndmask_b32_e64 v72, v230, v72, s[60:61]                 // 00000000599C: D1000048 00F291E6
	v_cndmask_b32_e64 v61, v230, v61, s[60:61]                 // 0000000059A4: D100003D 00F27BE6
	v_cndmask_b32_e64 v73, v230, v73, s[60:61]                 // 0000000059AC: D1000049 00F293E6
	v_cndmask_b32_e64 v62, v230, v62, s[60:61]                 // 0000000059B4: D100003E 00F27DE6
	v_cndmask_b32_e64 v74, v230, v74, s[60:61]                 // 0000000059BC: D100004A 00F295E6
	v_cndmask_b32_e64 v63, v230, v63, s[60:61]                 // 0000000059C4: D100003F 00F27FE6
	v_cndmask_b32_e64 v75, v230, v75, s[60:61]                 // 0000000059CC: D100004B 00F297E6
	s_branch label_0708                                        // 0000000059D4: BF820009

00000000000059d8 <label_06FF>:
	v_mov_b32_e32 v60, v230                                    // 0000000059D8: 7E7803E6
	v_mov_b32_e32 v72, v230                                    // 0000000059DC: 7E9003E6
	v_mov_b32_e32 v61, v230                                    // 0000000059E0: 7E7A03E6
	v_mov_b32_e32 v73, v230                                    // 0000000059E4: 7E9203E6
	v_mov_b32_e32 v62, v230                                    // 0000000059E8: 7E7C03E6
	v_mov_b32_e32 v74, v230                                    // 0000000059EC: 7E9403E6
	v_mov_b32_e32 v63, v230                                    // 0000000059F0: 7E7E03E6
	v_mov_b32_e32 v75, v230                                    // 0000000059F4: 7E9603E6
	s_branch label_0708                                        // 0000000059F8: BF820000

00000000000059fc <label_0708>:
	s_waitcnt lgkmcnt(8)                                       // 0000000059FC: BF8CC87F
	s_barrier                                                  // 000000005A00: BF8A0000
	v_mfma_f32_16x16x16_bf16 v[76:79], v[108:109], a[72:73], 0 // 000000005A04: D3E1004C 1202916C
	ds_read_b128 a[96:99], v14 offset:4352                     // 000000005A0C: DBFE1100 6000000E
	ds_read_b128 a[100:103], v14 offset:4864                   // 000000005A14: DBFE1300 6400000E
	v_mfma_f32_16x16x16_bf16 v[76:79], v[110:111], a[74:75], v[76:79]// 000000005A1C: D3E1004C 1532956E
	v_fma_f32 v52, v52, s57, -v140                             // 000000005A24: D1CB0034 86307334
	v_fma_f32 v53, v53, s57, -v141                             // 000000005A2C: D1CB0035 86347335
	v_fma_f32 v54, v54, s57, -v142                             // 000000005A34: D1CB0036 86387336
	v_fma_f32 v55, v55, s57, -v143                             // 000000005A3C: D1CB0037 863C7337
	v_fma_f32 v56, v56, s57, -v140                             // 000000005A44: D1CB0038 86307338
	v_fma_f32 v57, v57, s57, -v141                             // 000000005A4C: D1CB0039 86347339
	v_mfma_f32_16x16x16_bf16 v[76:79], v[112:113], a[76:77], v[76:79]// 000000005A54: D3E1004C 15329970
	v_fma_f32 v58, v58, s57, -v142                             // 000000005A5C: D1CB003A 8638733A
	v_fma_f32 v59, v59, s57, -v143                             // 000000005A64: D1CB003B 863C733B
	v_fma_f32 v60, v60, s57, -v140                             // 000000005A6C: D1CB003C 8630733C
	v_fma_f32 v61, v61, s57, -v141                             // 000000005A74: D1CB003D 8634733D
	v_fma_f32 v62, v62, s57, -v142                             // 000000005A7C: D1CB003E 8638733E
	v_fma_f32 v63, v63, s57, -v143                             // 000000005A84: D1CB003F 863C733F
	v_mfma_f32_16x16x16_bf16 v[76:79], v[114:115], a[78:79], v[76:79]// 000000005A8C: D3E1004C 15329D72
	v_fma_f32 v64, v64, s57, -v144                             // 000000005A94: D1CB0040 86407340
	v_fma_f32 v65, v65, s57, -v145                             // 000000005A9C: D1CB0041 86447341
	v_fma_f32 v66, v66, s57, -v146                             // 000000005AA4: D1CB0042 86487342
	v_fma_f32 v67, v67, s57, -v147                             // 000000005AAC: D1CB0043 864C7343
	v_fma_f32 v68, v68, s57, -v144                             // 000000005AB4: D1CB0044 86407344
	v_fma_f32 v69, v69, s57, -v145                             // 000000005ABC: D1CB0045 86447345
	v_mfma_f32_16x16x16_bf16 v[80:83], v[108:109], a[80:81], 0 // 000000005AC4: D3E10050 1202A16C
	ds_read_b128 a[104:107], v14 offset:6528                   // 000000005ACC: DBFE1980 6800000E
	ds_read_b128 a[108:111], v14 offset:7040                   // 000000005AD4: DBFE1B80 6C00000E
	v_mfma_f32_16x16x16_bf16 v[80:83], v[110:111], a[82:83], v[80:83]// 000000005ADC: D3E10050 1542A56E
	v_fma_f32 v70, v70, s57, -v146                             // 000000005AE4: D1CB0046 86487346
	v_fma_f32 v71, v71, s57, -v147                             // 000000005AEC: D1CB0047 864C7347
	v_fma_f32 v72, v72, s57, -v144                             // 000000005AF4: D1CB0048 86407348
	v_fma_f32 v73, v73, s57, -v145                             // 000000005AFC: D1CB0049 86447349
	v_fma_f32 v74, v74, s57, -v146                             // 000000005B04: D1CB004A 8648734A
	v_fma_f32 v75, v75, s57, -v147                             // 000000005B0C: D1CB004B 864C734B
	v_mfma_f32_16x16x16_bf16 v[80:83], v[112:113], a[84:85], v[80:83]// 000000005B14: D3E10050 1542A970
	v_exp_f32_e32 v52, v52                                     // 000000005B1C: 7E684134
	v_exp_f32_e32 v53, v53                                     // 000000005B20: 7E6A4135
	v_mfma_f32_16x16x16_bf16 v[80:83], v[114:115], a[86:87], v[80:83]// 000000005B24: D3E10050 1542AD72
	v_exp_f32_e32 v54, v54                                     // 000000005B2C: 7E6C4136
	v_exp_f32_e32 v55, v55                                     // 000000005B30: 7E6E4137
	v_mfma_f32_16x16x16_bf16 v[84:87], v[108:109], a[88:89], 0 // 000000005B34: D3E10054 1202B16C
	ds_read_b64 v[156:157], v21 offset:31232                   // 000000005B3C: D8EC7A00 9C000015
	ds_read_b64 v[158:159], v21 offset:33280                   // 000000005B44: D8EC8200 9E000015
	v_mfma_f32_16x16x16_bf16 v[84:87], v[110:111], a[90:91], v[84:87]// 000000005B4C: D3E10054 1552B56E
	v_exp_f32_e32 v56, v56                                     // 000000005B54: 7E704138
	v_exp_f32_e32 v57, v57                                     // 000000005B58: 7E724139
	v_mfma_f32_16x16x16_bf16 v[84:87], v[112:113], a[92:93], v[84:87]// 000000005B5C: D3E10054 1552B970
	ds_read_b64 v[160:161], v21 offset:35328                   // 000000005B64: D8EC8A00 A0000015
	ds_read_b64 v[162:163], v21 offset:37376                   // 000000005B6C: D8EC9200 A2000015
	v_mfma_f32_16x16x16_bf16 v[84:87], v[114:115], a[94:95], v[84:87]// 000000005B74: D3E10054 1552BD72
	v_exp_f32_e32 v58, v58                                     // 000000005B7C: 7E74413A
	v_exp_f32_e32 v59, v59                                     // 000000005B80: 7E76413B
	v_mfma_f32_16x16x16_bf16 v[88:91], v[116:117], a[72:73], 0 // 000000005B84: D3E10058 12029174
	v_exp_f32_e32 v60, v60                                     // 000000005B8C: 7E78413C
	v_exp_f32_e32 v61, v61                                     // 000000005B90: 7E7A413D
	v_mfma_f32_16x16x16_bf16 v[88:91], v[118:119], a[74:75], v[88:91]// 000000005B94: D3E10058 15629576
	v_exp_f32_e32 v62, v62                                     // 000000005B9C: 7E7C413E
	v_exp_f32_e32 v63, v63                                     // 000000005BA0: 7E7E413F
	v_mfma_f32_16x16x16_bf16 v[88:91], v[120:121], a[76:77], v[88:91]// 000000005BA4: D3E10058 15629978
	v_exp_f32_e32 v64, v64                                     // 000000005BAC: 7E804140
	v_exp_f32_e32 v65, v65                                     // 000000005BB0: 7E824141
	v_mfma_f32_16x16x16_bf16 v[88:91], v[122:123], a[78:79], v[88:91]// 000000005BB4: D3E10058 15629D7A
	v_exp_f32_e32 v66, v66                                     // 000000005BBC: 7E844142
	v_exp_f32_e32 v67, v67                                     // 000000005BC0: 7E864143
	v_mfma_f32_16x16x16_bf16 v[92:95], v[116:117], a[80:81], 0 // 000000005BC4: D3E1005C 1202A174
	v_exp_f32_e32 v68, v68                                     // 000000005BCC: 7E884144
	v_exp_f32_e32 v69, v69                                     // 000000005BD0: 7E8A4145
	v_mfma_f32_16x16x16_bf16 v[92:95], v[118:119], a[82:83], v[92:95]// 000000005BD4: D3E1005C 1572A576
	v_exp_f32_e32 v70, v70                                     // 000000005BDC: 7E8C4146
	v_exp_f32_e32 v71, v71                                     // 000000005BE0: 7E8E4147
	v_mfma_f32_16x16x16_bf16 v[92:95], v[120:121], a[84:85], v[92:95]// 000000005BE4: D3E1005C 1572A978
	v_exp_f32_e32 v72, v72                                     // 000000005BEC: 7E904148
	v_exp_f32_e32 v73, v73                                     // 000000005BF0: 7E924149
	v_mfma_f32_16x16x16_bf16 v[92:95], v[122:123], a[86:87], v[92:95]// 000000005BF4: D3E1005C 1572AD7A
	v_exp_f32_e32 v74, v74                                     // 000000005BFC: 7E94414A
	v_exp_f32_e32 v75, v75                                     // 000000005C00: 7E96414B
	v_mfma_f32_16x16x16_bf16 v[96:99], v[116:117], a[88:89], 0 // 000000005C04: D3E10060 1202B174
	v_cmp_u_f32_e64 s[74:75], v52, v52                         // 000000005C0C: D048004A 00026934
	v_bfe_u32 v226, v52, 16, 1                                 // 000000005C14: D1C800E2 02052134
	v_add3_u32 v226, v52, v226, v229                           // 000000005C1C: D1FF00E2 0797C534
	v_cndmask_b32_e64 v32, v226, v228, s[74:75]                // 000000005C24: D1000020 012BC9E2
	v_lshrrev_b32_e32 v32, 16, v32                             // 000000005C2C: 20404090
	v_cmp_u_f32_e64 s[74:75], v53, v53                         // 000000005C30: D048004A 00026B35
	v_bfe_u32 v226, v53, 16, 1                                 // 000000005C38: D1C800E2 02052135
	v_add3_u32 v226, v53, v226, v229                           // 000000005C40: D1FF00E2 0797C535
	v_cndmask_b32_e64 v33, v226, v228, s[74:75]                // 000000005C48: D1000021 012BC9E2
	v_and_or_b32 v164, v33, v227, v32                          // 000000005C50: D20100A4 0483C721
	v_cmp_u_f32_e64 s[74:75], v54, v54                         // 000000005C58: D048004A 00026D36
	v_bfe_u32 v226, v54, 16, 1                                 // 000000005C60: D1C800E2 02052136
	v_add3_u32 v226, v54, v226, v229                           // 000000005C68: D1FF00E2 0797C536
	v_cndmask_b32_e64 v32, v226, v228, s[74:75]                // 000000005C70: D1000020 012BC9E2
	v_lshrrev_b32_e32 v32, 16, v32                             // 000000005C78: 20404090
	v_cmp_u_f32_e64 s[74:75], v55, v55                         // 000000005C7C: D048004A 00026F37
	v_bfe_u32 v226, v55, 16, 1                                 // 000000005C84: D1C800E2 02052137
	v_add3_u32 v226, v55, v226, v229                           // 000000005C8C: D1FF00E2 0797C537
	v_cndmask_b32_e64 v33, v226, v228, s[74:75]                // 000000005C94: D1000021 012BC9E2
	v_and_or_b32 v165, v33, v227, v32                          // 000000005C9C: D20100A5 0483C721
	v_cmp_u_f32_e64 s[74:75], v56, v56                         // 000000005CA4: D048004A 00027138
	v_bfe_u32 v226, v56, 16, 1                                 // 000000005CAC: D1C800E2 02052138
	v_add3_u32 v226, v56, v226, v229                           // 000000005CB4: D1FF00E2 0797C538
	v_cndmask_b32_e64 v32, v226, v228, s[74:75]                // 000000005CBC: D1000020 012BC9E2
	v_lshrrev_b32_e32 v32, 16, v32                             // 000000005CC4: 20404090
	v_cmp_u_f32_e64 s[74:75], v57, v57                         // 000000005CC8: D048004A 00027339
	v_bfe_u32 v226, v57, 16, 1                                 // 000000005CD0: D1C800E2 02052139
	v_add3_u32 v226, v57, v226, v229                           // 000000005CD8: D1FF00E2 0797C539
	v_cndmask_b32_e64 v33, v226, v228, s[74:75]                // 000000005CE0: D1000021 012BC9E2
	v_and_or_b32 v166, v33, v227, v32                          // 000000005CE8: D20100A6 0483C721
	v_cmp_u_f32_e64 s[74:75], v58, v58                         // 000000005CF0: D048004A 0002753A
	v_bfe_u32 v226, v58, 16, 1                                 // 000000005CF8: D1C800E2 0205213A
	v_add3_u32 v226, v58, v226, v229                           // 000000005D00: D1FF00E2 0797C53A
	v_cndmask_b32_e64 v32, v226, v228, s[74:75]                // 000000005D08: D1000020 012BC9E2
	v_lshrrev_b32_e32 v32, 16, v32                             // 000000005D10: 20404090
	v_cmp_u_f32_e64 s[74:75], v59, v59                         // 000000005D14: D048004A 0002773B
	v_bfe_u32 v226, v59, 16, 1                                 // 000000005D1C: D1C800E2 0205213B
	v_add3_u32 v226, v59, v226, v229                           // 000000005D24: D1FF00E2 0797C53B
	v_cndmask_b32_e64 v33, v226, v228, s[74:75]                // 000000005D2C: D1000021 012BC9E2
	v_and_or_b32 v167, v33, v227, v32                          // 000000005D34: D20100A7 0483C721
	v_cmp_u_f32_e64 s[74:75], v60, v60                         // 000000005D3C: D048004A 0002793C
	v_bfe_u32 v226, v60, 16, 1                                 // 000000005D44: D1C800E2 0205213C
	v_add3_u32 v226, v60, v226, v229                           // 000000005D4C: D1FF00E2 0797C53C
	v_cndmask_b32_e64 v32, v226, v228, s[74:75]                // 000000005D54: D1000020 012BC9E2
	v_lshrrev_b32_e32 v32, 16, v32                             // 000000005D5C: 20404090
	v_cmp_u_f32_e64 s[74:75], v61, v61                         // 000000005D60: D048004A 00027B3D
	v_bfe_u32 v226, v61, 16, 1                                 // 000000005D68: D1C800E2 0205213D
	v_add3_u32 v226, v61, v226, v229                           // 000000005D70: D1FF00E2 0797C53D
	v_cndmask_b32_e64 v33, v226, v228, s[74:75]                // 000000005D78: D1000021 012BC9E2
	v_and_or_b32 v168, v33, v227, v32                          // 000000005D80: D20100A8 0483C721
	v_cmp_u_f32_e64 s[74:75], v62, v62                         // 000000005D88: D048004A 00027D3E
	v_bfe_u32 v226, v62, 16, 1                                 // 000000005D90: D1C800E2 0205213E
	v_add3_u32 v226, v62, v226, v229                           // 000000005D98: D1FF00E2 0797C53E
	v_cndmask_b32_e64 v32, v226, v228, s[74:75]                // 000000005DA0: D1000020 012BC9E2
	v_lshrrev_b32_e32 v32, 16, v32                             // 000000005DA8: 20404090
	v_cmp_u_f32_e64 s[74:75], v63, v63                         // 000000005DAC: D048004A 00027F3F
	v_bfe_u32 v226, v63, 16, 1                                 // 000000005DB4: D1C800E2 0205213F
	v_add3_u32 v226, v63, v226, v229                           // 000000005DBC: D1FF00E2 0797C53F
	v_cndmask_b32_e64 v33, v226, v228, s[74:75]                // 000000005DC4: D1000021 012BC9E2
	v_and_or_b32 v169, v33, v227, v32                          // 000000005DCC: D20100A9 0483C721
	v_mfma_f32_16x16x16_bf16 v[96:99], v[118:119], a[90:91], v[96:99]// 000000005DD4: D3E10060 1582B576
	v_cmp_u_f32_e64 s[74:75], v64, v64                         // 000000005DDC: D048004A 00028140
	v_bfe_u32 v226, v64, 16, 1                                 // 000000005DE4: D1C800E2 02052140
	v_add3_u32 v226, v64, v226, v229                           // 000000005DEC: D1FF00E2 0797C540
	v_cndmask_b32_e64 v32, v226, v228, s[74:75]                // 000000005DF4: D1000020 012BC9E2
	v_lshrrev_b32_e32 v32, 16, v32                             // 000000005DFC: 20404090
	v_cmp_u_f32_e64 s[74:75], v65, v65                         // 000000005E00: D048004A 00028341
	v_bfe_u32 v226, v65, 16, 1                                 // 000000005E08: D1C800E2 02052141
	v_add3_u32 v226, v65, v226, v229                           // 000000005E10: D1FF00E2 0797C541
	v_cndmask_b32_e64 v33, v226, v228, s[74:75]                // 000000005E18: D1000021 012BC9E2
	v_and_or_b32 v170, v33, v227, v32                          // 000000005E20: D20100AA 0483C721
	v_cmp_u_f32_e64 s[74:75], v66, v66                         // 000000005E28: D048004A 00028542
	v_bfe_u32 v226, v66, 16, 1                                 // 000000005E30: D1C800E2 02052142
	v_add3_u32 v226, v66, v226, v229                           // 000000005E38: D1FF00E2 0797C542
	v_cndmask_b32_e64 v32, v226, v228, s[74:75]                // 000000005E40: D1000020 012BC9E2
	v_lshrrev_b32_e32 v32, 16, v32                             // 000000005E48: 20404090
	v_cmp_u_f32_e64 s[74:75], v67, v67                         // 000000005E4C: D048004A 00028743
	v_bfe_u32 v226, v67, 16, 1                                 // 000000005E54: D1C800E2 02052143
	v_add3_u32 v226, v67, v226, v229                           // 000000005E5C: D1FF00E2 0797C543
	v_cndmask_b32_e64 v33, v226, v228, s[74:75]                // 000000005E64: D1000021 012BC9E2
	v_and_or_b32 v171, v33, v227, v32                          // 000000005E6C: D20100AB 0483C721
	v_cmp_u_f32_e64 s[74:75], v68, v68                         // 000000005E74: D048004A 00028944
	v_bfe_u32 v226, v68, 16, 1                                 // 000000005E7C: D1C800E2 02052144
	v_add3_u32 v226, v68, v226, v229                           // 000000005E84: D1FF00E2 0797C544
	v_cndmask_b32_e64 v32, v226, v228, s[74:75]                // 000000005E8C: D1000020 012BC9E2
	v_lshrrev_b32_e32 v32, 16, v32                             // 000000005E94: 20404090
	v_cmp_u_f32_e64 s[74:75], v69, v69                         // 000000005E98: D048004A 00028B45
	v_bfe_u32 v226, v69, 16, 1                                 // 000000005EA0: D1C800E2 02052145
	v_add3_u32 v226, v69, v226, v229                           // 000000005EA8: D1FF00E2 0797C545
	v_cndmask_b32_e64 v33, v226, v228, s[74:75]                // 000000005EB0: D1000021 012BC9E2
	v_and_or_b32 v172, v33, v227, v32                          // 000000005EB8: D20100AC 0483C721
	v_cmp_u_f32_e64 s[74:75], v70, v70                         // 000000005EC0: D048004A 00028D46
	v_bfe_u32 v226, v70, 16, 1                                 // 000000005EC8: D1C800E2 02052146
	v_add3_u32 v226, v70, v226, v229                           // 000000005ED0: D1FF00E2 0797C546
	v_cndmask_b32_e64 v32, v226, v228, s[74:75]                // 000000005ED8: D1000020 012BC9E2
	v_lshrrev_b32_e32 v32, 16, v32                             // 000000005EE0: 20404090
	v_cmp_u_f32_e64 s[74:75], v71, v71                         // 000000005EE4: D048004A 00028F47
	v_bfe_u32 v226, v71, 16, 1                                 // 000000005EEC: D1C800E2 02052147
	v_add3_u32 v226, v71, v226, v229                           // 000000005EF4: D1FF00E2 0797C547
	v_cndmask_b32_e64 v33, v226, v228, s[74:75]                // 000000005EFC: D1000021 012BC9E2
	v_and_or_b32 v173, v33, v227, v32                          // 000000005F04: D20100AD 0483C721
	v_cmp_u_f32_e64 s[74:75], v72, v72                         // 000000005F0C: D048004A 00029148
	v_bfe_u32 v226, v72, 16, 1                                 // 000000005F14: D1C800E2 02052148
	v_add3_u32 v226, v72, v226, v229                           // 000000005F1C: D1FF00E2 0797C548
	v_cndmask_b32_e64 v32, v226, v228, s[74:75]                // 000000005F24: D1000020 012BC9E2
	v_lshrrev_b32_e32 v32, 16, v32                             // 000000005F2C: 20404090
	v_cmp_u_f32_e64 s[74:75], v73, v73                         // 000000005F30: D048004A 00029349
	v_bfe_u32 v226, v73, 16, 1                                 // 000000005F38: D1C800E2 02052149
	v_add3_u32 v226, v73, v226, v229                           // 000000005F40: D1FF00E2 0797C549
	v_cndmask_b32_e64 v33, v226, v228, s[74:75]                // 000000005F48: D1000021 012BC9E2
	v_and_or_b32 v174, v33, v227, v32                          // 000000005F50: D20100AE 0483C721
	v_cmp_u_f32_e64 s[74:75], v74, v74                         // 000000005F58: D048004A 0002954A
	v_bfe_u32 v226, v74, 16, 1                                 // 000000005F60: D1C800E2 0205214A
	v_add3_u32 v226, v74, v226, v229                           // 000000005F68: D1FF00E2 0797C54A
	v_cndmask_b32_e64 v32, v226, v228, s[74:75]                // 000000005F70: D1000020 012BC9E2
	v_lshrrev_b32_e32 v32, 16, v32                             // 000000005F78: 20404090
	v_cmp_u_f32_e64 s[74:75], v75, v75                         // 000000005F7C: D048004A 0002974B
	v_bfe_u32 v226, v75, 16, 1                                 // 000000005F84: D1C800E2 0205214B
	v_add3_u32 v226, v75, v226, v229                           // 000000005F8C: D1FF00E2 0797C54B
	v_cndmask_b32_e64 v33, v226, v228, s[74:75]                // 000000005F94: D1000021 012BC9E2
	v_and_or_b32 v175, v33, v227, v32                          // 000000005F9C: D20100AF 0483C721
	v_mfma_f32_16x16x16_bf16 v[96:99], v[120:121], a[92:93], v[96:99]// 000000005FA4: D3E10060 1582B978
	v_add_u32_e32 v6, s66, v6                                  // 000000005FAC: 680C0C42
	v_add_u32_e32 v7, s66, v7                                  // 000000005FB0: 680E0E42
	v_add_u32_e32 v8, s66, v8                                  // 000000005FB4: 68101042
	v_add_u32_e32 v9, s66, v9                                  // 000000005FB8: 68121242
	v_mfma_f32_16x16x16_bf16 v[96:99], v[122:123], a[94:95], v[96:99]// 000000005FBC: D3E10060 1582BD7A
	s_waitcnt lgkmcnt(0)                                       // 000000005FC4: BF8CC07F
	s_barrier                                                  // 000000005FC8: BF8A0000
	v_mfma_f32_16x16x16_bf16 v[178:181], v[124:125], v[164:165], v[178:181]// 000000005FCC: D3E100B2 06CB497C
	v_subrev_f32_dpp v76, v176, v76 quad_perm:[0,0,0,0] row_mask:0xf bank_mask:0xf// 000000005FD4: 069898FA FF0000B0
	v_subrev_f32_dpp v77, v176, v77 quad_perm:[1,1,1,1] row_mask:0xf bank_mask:0xf// 000000005FDC: 069A9AFA FF0055B0
	v_subrev_f32_dpp v78, v176, v78 quad_perm:[2,2,2,2] row_mask:0xf bank_mask:0xf// 000000005FE4: 069C9CFA FF00AAB0
	v_subrev_f32_dpp v79, v176, v79 quad_perm:[3,3,3,3] row_mask:0xf bank_mask:0xf// 000000005FEC: 069E9EFA FF00FFB0
	v_subrev_f32_dpp v80, v176, v80 quad_perm:[0,0,0,0] row_mask:0xf bank_mask:0xf// 000000005FF4: 06A0A0FA FF0000B0
	v_subrev_f32_dpp v81, v176, v81 quad_perm:[1,1,1,1] row_mask:0xf bank_mask:0xf// 000000005FFC: 06A2A2FA FF0055B0
	v_mfma_f32_16x16x16_bf16 v[182:185], v[126:127], v[164:165], v[182:185]// 000000006004: D3E100B6 06DB497E
	v_subrev_f32_dpp v82, v176, v82 quad_perm:[2,2,2,2] row_mask:0xf bank_mask:0xf// 00000000600C: 06A4A4FA FF00AAB0
	v_subrev_f32_dpp v83, v176, v83 quad_perm:[3,3,3,3] row_mask:0xf bank_mask:0xf// 000000006014: 06A6A6FA FF00FFB0
	v_subrev_f32_dpp v84, v176, v84 quad_perm:[0,0,0,0] row_mask:0xf bank_mask:0xf// 00000000601C: 06A8A8FA FF0000B0
	v_subrev_f32_dpp v85, v176, v85 quad_perm:[1,1,1,1] row_mask:0xf bank_mask:0xf// 000000006024: 06AAAAFA FF0055B0
	v_subrev_f32_dpp v86, v176, v86 quad_perm:[2,2,2,2] row_mask:0xf bank_mask:0xf// 00000000602C: 06ACACFA FF00AAB0
	v_subrev_f32_dpp v87, v176, v87 quad_perm:[3,3,3,3] row_mask:0xf bank_mask:0xf// 000000006034: 06AEAEFA FF00FFB0
	v_mfma_f32_16x16x16_bf16 v[186:189], v[128:129], v[164:165], v[186:189]// 00000000603C: D3E100BA 06EB4980
	v_mul_f32_e32 v76, v52, v76                                // 000000006044: 0A989934
	v_mul_f32_e32 v77, v53, v77                                // 000000006048: 0A9A9B35
	v_mul_f32_e32 v78, v54, v78                                // 00000000604C: 0A9C9D36
	v_mul_f32_e32 v79, v55, v79                                // 000000006050: 0A9E9F37
	v_mul_f32_e32 v80, v56, v80                                // 000000006054: 0AA0A138
	v_mul_f32_e32 v81, v57, v81                                // 000000006058: 0AA2A339
	v_mfma_f32_16x16x16_bf16 v[190:193], v[130:131], v[164:165], v[190:193]// 00000000605C: D3E100BE 06FB4982
	v_mul_f32_e32 v82, v58, v82                                // 000000006064: 0AA4A53A
	v_mul_f32_e32 v83, v59, v83                                // 000000006068: 0AA6A73B
	v_mul_f32_e32 v84, v60, v84                                // 00000000606C: 0AA8A93C
	v_mul_f32_e32 v85, v61, v85                                // 000000006070: 0AAAAB3D
	v_mul_f32_e32 v86, v62, v86                                // 000000006074: 0AACAD3E
	v_mul_f32_e32 v87, v63, v87                                // 000000006078: 0AAEAF3F
	v_mfma_f32_16x16x16_bf16 v[194:197], v[124:125], v[166:167], v[194:197]// 00000000607C: D3E100C2 070B4D7C
	v_cmp_u_f32_e64 s[74:75], v76, v76                         // 000000006084: D048004A 0002994C
	v_bfe_u32 v226, v76, 16, 1                                 // 00000000608C: D1C800E2 0205214C
	v_add3_u32 v226, v76, v226, v229                           // 000000006094: D1FF00E2 0797C54C
	v_cndmask_b32_e64 v32, v226, v228, s[74:75]                // 00000000609C: D1000020 012BC9E2
	v_lshrrev_b32_e32 v32, 16, v32                             // 0000000060A4: 20404090
	v_cmp_u_f32_e64 s[74:75], v77, v77                         // 0000000060A8: D048004A 00029B4D
	v_bfe_u32 v226, v77, 16, 1                                 // 0000000060B0: D1C800E2 0205214D
	v_add3_u32 v226, v77, v226, v229                           // 0000000060B8: D1FF00E2 0797C54D
	v_cndmask_b32_e64 v33, v226, v228, s[74:75]                // 0000000060C0: D1000021 012BC9E2
	v_and_or_b32 v76, v33, v227, v32                           // 0000000060C8: D201004C 0483C721
	v_cmp_u_f32_e64 s[74:75], v78, v78                         // 0000000060D0: D048004A 00029D4E
	v_bfe_u32 v226, v78, 16, 1                                 // 0000000060D8: D1C800E2 0205214E
	v_add3_u32 v226, v78, v226, v229                           // 0000000060E0: D1FF00E2 0797C54E
	v_cndmask_b32_e64 v32, v226, v228, s[74:75]                // 0000000060E8: D1000020 012BC9E2
	v_lshrrev_b32_e32 v32, 16, v32                             // 0000000060F0: 20404090
	v_cmp_u_f32_e64 s[74:75], v79, v79                         // 0000000060F4: D048004A 00029F4F
	v_bfe_u32 v226, v79, 16, 1                                 // 0000000060FC: D1C800E2 0205214F
	v_add3_u32 v226, v79, v226, v229                           // 000000006104: D1FF00E2 0797C54F
	v_cndmask_b32_e64 v33, v226, v228, s[74:75]                // 00000000610C: D1000021 012BC9E2
	v_and_or_b32 v77, v33, v227, v32                           // 000000006114: D201004D 0483C721
	v_cmp_u_f32_e64 s[74:75], v80, v80                         // 00000000611C: D048004A 0002A150
	v_bfe_u32 v226, v80, 16, 1                                 // 000000006124: D1C800E2 02052150
	v_add3_u32 v226, v80, v226, v229                           // 00000000612C: D1FF00E2 0797C550
	v_cndmask_b32_e64 v32, v226, v228, s[74:75]                // 000000006134: D1000020 012BC9E2
	v_lshrrev_b32_e32 v32, 16, v32                             // 00000000613C: 20404090
	v_cmp_u_f32_e64 s[74:75], v81, v81                         // 000000006140: D048004A 0002A351
	v_bfe_u32 v226, v81, 16, 1                                 // 000000006148: D1C800E2 02052151
	v_add3_u32 v226, v81, v226, v229                           // 000000006150: D1FF00E2 0797C551
	v_cndmask_b32_e64 v33, v226, v228, s[74:75]                // 000000006158: D1000021 012BC9E2
	v_and_or_b32 v78, v33, v227, v32                           // 000000006160: D201004E 0483C721
	v_cmp_u_f32_e64 s[74:75], v82, v82                         // 000000006168: D048004A 0002A552
	v_bfe_u32 v226, v82, 16, 1                                 // 000000006170: D1C800E2 02052152
	v_add3_u32 v226, v82, v226, v229                           // 000000006178: D1FF00E2 0797C552
	v_cndmask_b32_e64 v32, v226, v228, s[74:75]                // 000000006180: D1000020 012BC9E2
	v_lshrrev_b32_e32 v32, 16, v32                             // 000000006188: 20404090
	v_cmp_u_f32_e64 s[74:75], v83, v83                         // 00000000618C: D048004A 0002A753
	v_bfe_u32 v226, v83, 16, 1                                 // 000000006194: D1C800E2 02052153
	v_add3_u32 v226, v83, v226, v229                           // 00000000619C: D1FF00E2 0797C553
	v_cndmask_b32_e64 v33, v226, v228, s[74:75]                // 0000000061A4: D1000021 012BC9E2
	v_and_or_b32 v79, v33, v227, v32                           // 0000000061AC: D201004F 0483C721
	v_cmp_u_f32_e64 s[74:75], v84, v84                         // 0000000061B4: D048004A 0002A954
	v_bfe_u32 v226, v84, 16, 1                                 // 0000000061BC: D1C800E2 02052154
	v_add3_u32 v226, v84, v226, v229                           // 0000000061C4: D1FF00E2 0797C554
	v_cndmask_b32_e64 v32, v226, v228, s[74:75]                // 0000000061CC: D1000020 012BC9E2
	v_lshrrev_b32_e32 v32, 16, v32                             // 0000000061D4: 20404090
	v_cmp_u_f32_e64 s[74:75], v85, v85                         // 0000000061D8: D048004A 0002AB55
	v_bfe_u32 v226, v85, 16, 1                                 // 0000000061E0: D1C800E2 02052155
	v_add3_u32 v226, v85, v226, v229                           // 0000000061E8: D1FF00E2 0797C555
	v_cndmask_b32_e64 v33, v226, v228, s[74:75]                // 0000000061F0: D1000021 012BC9E2
	v_and_or_b32 v80, v33, v227, v32                           // 0000000061F8: D2010050 0483C721
	v_cmp_u_f32_e64 s[74:75], v86, v86                         // 000000006200: D048004A 0002AD56
	v_bfe_u32 v226, v86, 16, 1                                 // 000000006208: D1C800E2 02052156
	v_add3_u32 v226, v86, v226, v229                           // 000000006210: D1FF00E2 0797C556
	v_cndmask_b32_e64 v32, v226, v228, s[74:75]                // 000000006218: D1000020 012BC9E2
	v_lshrrev_b32_e32 v32, 16, v32                             // 000000006220: 20404090
	v_cmp_u_f32_e64 s[74:75], v87, v87                         // 000000006224: D048004A 0002AF57
	v_bfe_u32 v226, v87, 16, 1                                 // 00000000622C: D1C800E2 02052157
	v_add3_u32 v226, v87, v226, v229                           // 000000006234: D1FF00E2 0797C557
	v_cndmask_b32_e64 v33, v226, v228, s[74:75]                // 00000000623C: D1000021 012BC9E2
	v_and_or_b32 v81, v33, v227, v32                           // 000000006244: D2010051 0483C721
	v_mfma_f32_16x16x16_bf16 v[198:201], v[126:127], v[166:167], v[198:201]// 00000000624C: D3E100C6 071B4D7E
	v_mov_b32_dpp v18, v76 quad_perm:[1,0,3,2] row_mask:0xf bank_mask:0xf// 000000006254: 7E2402FA FF00B14C
	v_perm_b32 v52, v18, v76, v17                              // 00000000625C: D1ED0034 04469912
	v_mov_b32_dpp v18, v77 quad_perm:[1,0,3,2] row_mask:0xf bank_mask:0xf// 000000006264: 7E2402FA FF00B14D
	v_perm_b32 v53, v18, v77, v17                              // 00000000626C: D1ED0035 04469B12
	v_mov_b32_dpp v18, v78 quad_perm:[1,0,3,2] row_mask:0xf bank_mask:0xf// 000000006274: 7E2402FA FF00B14E
	v_perm_b32 v54, v18, v78, v17                              // 00000000627C: D1ED0036 04469D12
	v_mfma_f32_16x16x16_bf16 v[202:205], v[128:129], v[166:167], v[202:205]// 000000006284: D3E100CA 072B4D80
	v_mov_b32_dpp v18, v79 quad_perm:[1,0,3,2] row_mask:0xf bank_mask:0xf// 00000000628C: 7E2402FA FF00B14F
	v_perm_b32 v55, v18, v79, v17                              // 000000006294: D1ED0037 04469F12
	v_mov_b32_dpp v18, v80 quad_perm:[1,0,3,2] row_mask:0xf bank_mask:0xf// 00000000629C: 7E2402FA FF00B150
	v_perm_b32 v56, v18, v80, v17                              // 0000000062A4: D1ED0038 0446A112
	v_mov_b32_dpp v18, v81 quad_perm:[1,0,3,2] row_mask:0xf bank_mask:0xf// 0000000062AC: 7E2402FA FF00B151
	v_perm_b32 v57, v18, v81, v17                              // 0000000062B4: D1ED0039 0446A312
	v_mfma_f32_16x16x16_bf16 v[206:209], v[130:131], v[166:167], v[206:209]// 0000000062BC: D3E100CE 073B4D82
	ds_write_b32 v20, v52 offset:17408                         // 0000000062C4: D81A4400 00003414
	ds_write_b32 v20, v53 offset:17952                         // 0000000062CC: D81A4620 00003514
	v_mfma_f32_16x16x16_bf16 v[210:213], v[124:125], v[168:169], v[210:213]// 0000000062D4: D3E100D2 074B517C
	v_subrev_f32_dpp v88, v177, v88 quad_perm:[0,0,0,0] row_mask:0xf bank_mask:0xf// 0000000062DC: 06B0B0FA FF0000B1
	v_subrev_f32_dpp v89, v177, v89 quad_perm:[1,1,1,1] row_mask:0xf bank_mask:0xf// 0000000062E4: 06B2B2FA FF0055B1
	v_subrev_f32_dpp v90, v177, v90 quad_perm:[2,2,2,2] row_mask:0xf bank_mask:0xf// 0000000062EC: 06B4B4FA FF00AAB1
	v_subrev_f32_dpp v91, v177, v91 quad_perm:[3,3,3,3] row_mask:0xf bank_mask:0xf// 0000000062F4: 06B6B6FA FF00FFB1
	v_subrev_f32_dpp v92, v177, v92 quad_perm:[0,0,0,0] row_mask:0xf bank_mask:0xf// 0000000062FC: 06B8B8FA FF0000B1
	v_subrev_f32_dpp v93, v177, v93 quad_perm:[1,1,1,1] row_mask:0xf bank_mask:0xf// 000000006304: 06BABAFA FF0055B1
	v_mfma_f32_16x16x16_bf16 v[214:217], v[126:127], v[168:169], v[214:217]// 00000000630C: D3E100D6 075B517E
	ds_write_b32 v20, v54 offset:19712                         // 000000006314: D81A4D00 00003614
	ds_write_b32 v20, v55 offset:20256                         // 00000000631C: D81A4F20 00003714
	v_mfma_f32_16x16x16_bf16 v[218:221], v[128:129], v[168:169], v[218:221]// 000000006324: D3E100DA 076B5180
	v_subrev_f32_dpp v94, v177, v94 quad_perm:[2,2,2,2] row_mask:0xf bank_mask:0xf// 00000000632C: 06BCBCFA FF00AAB1
	v_subrev_f32_dpp v95, v177, v95 quad_perm:[3,3,3,3] row_mask:0xf bank_mask:0xf// 000000006334: 06BEBEFA FF00FFB1
	v_subrev_f32_dpp v96, v177, v96 quad_perm:[0,0,0,0] row_mask:0xf bank_mask:0xf// 00000000633C: 06C0C0FA FF0000B1
	v_subrev_f32_dpp v97, v177, v97 quad_perm:[1,1,1,1] row_mask:0xf bank_mask:0xf// 000000006344: 06C2C2FA FF0055B1
	v_subrev_f32_dpp v98, v177, v98 quad_perm:[2,2,2,2] row_mask:0xf bank_mask:0xf// 00000000634C: 06C4C4FA FF00AAB1
	v_subrev_f32_dpp v99, v177, v99 quad_perm:[3,3,3,3] row_mask:0xf bank_mask:0xf// 000000006354: 06C6C6FA FF00FFB1
	v_mfma_f32_16x16x16_bf16 v[222:225], v[130:131], v[168:169], v[222:225]// 00000000635C: D3E100DE 077B5182
	ds_write_b32 v20, v56 offset:22016                         // 000000006364: D81A5600 00003814
	ds_write_b32 v20, v57 offset:22560                         // 00000000636C: D81A5820 00003914
	v_mfma_f32_16x16x16_bf16 v[178:181], v[132:133], v[170:171], v[178:181]// 000000006374: D3E100B2 06CB5584
	v_mul_f32_e32 v88, v64, v88                                // 00000000637C: 0AB0B140
	v_mul_f32_e32 v89, v65, v89                                // 000000006380: 0AB2B341
	v_mul_f32_e32 v90, v66, v90                                // 000000006384: 0AB4B542
	v_mul_f32_e32 v91, v67, v91                                // 000000006388: 0AB6B743
	v_mul_f32_e32 v92, v68, v92                                // 00000000638C: 0AB8B944
	v_mul_f32_e32 v93, v69, v93                                // 000000006390: 0ABABB45
	v_mfma_f32_16x16x16_bf16 v[182:185], v[134:135], v[170:171], v[182:185]// 000000006394: D3E100B6 06DB5586
	v_mul_f32_e32 v94, v70, v94                                // 00000000639C: 0ABCBD46
	v_mul_f32_e32 v95, v71, v95                                // 0000000063A0: 0ABEBF47
	v_mul_f32_e32 v96, v72, v96                                // 0000000063A4: 0AC0C148
	v_mul_f32_e32 v97, v73, v97                                // 0000000063A8: 0AC2C349
	v_mul_f32_e32 v98, v74, v98                                // 0000000063AC: 0AC4C54A
	v_mul_f32_e32 v99, v75, v99                                // 0000000063B0: 0AC6C74B
	v_mfma_f32_16x16x16_bf16 v[186:189], v[136:137], v[170:171], v[186:189]// 0000000063B4: D3E100BA 06EB5588
	v_cmp_u_f32_e64 s[74:75], v88, v88                         // 0000000063BC: D048004A 0002B158
	v_bfe_u32 v226, v88, 16, 1                                 // 0000000063C4: D1C800E2 02052158
	v_add3_u32 v226, v88, v226, v229                           // 0000000063CC: D1FF00E2 0797C558
	v_cndmask_b32_e64 v32, v226, v228, s[74:75]                // 0000000063D4: D1000020 012BC9E2
	v_lshrrev_b32_e32 v32, 16, v32                             // 0000000063DC: 20404090
	v_cmp_u_f32_e64 s[74:75], v89, v89                         // 0000000063E0: D048004A 0002B359
	v_bfe_u32 v226, v89, 16, 1                                 // 0000000063E8: D1C800E2 02052159
	v_add3_u32 v226, v89, v226, v229                           // 0000000063F0: D1FF00E2 0797C559
	v_cndmask_b32_e64 v33, v226, v228, s[74:75]                // 0000000063F8: D1000021 012BC9E2
	v_and_or_b32 v82, v33, v227, v32                           // 000000006400: D2010052 0483C721
	v_cmp_u_f32_e64 s[74:75], v90, v90                         // 000000006408: D048004A 0002B55A
	v_bfe_u32 v226, v90, 16, 1                                 // 000000006410: D1C800E2 0205215A
	v_add3_u32 v226, v90, v226, v229                           // 000000006418: D1FF00E2 0797C55A
	v_cndmask_b32_e64 v32, v226, v228, s[74:75]                // 000000006420: D1000020 012BC9E2
	v_lshrrev_b32_e32 v32, 16, v32                             // 000000006428: 20404090
	v_cmp_u_f32_e64 s[74:75], v91, v91                         // 00000000642C: D048004A 0002B75B
	v_bfe_u32 v226, v91, 16, 1                                 // 000000006434: D1C800E2 0205215B
	v_add3_u32 v226, v91, v226, v229                           // 00000000643C: D1FF00E2 0797C55B
	v_cndmask_b32_e64 v33, v226, v228, s[74:75]                // 000000006444: D1000021 012BC9E2
	v_and_or_b32 v83, v33, v227, v32                           // 00000000644C: D2010053 0483C721
	v_cmp_u_f32_e64 s[74:75], v92, v92                         // 000000006454: D048004A 0002B95C
	v_bfe_u32 v226, v92, 16, 1                                 // 00000000645C: D1C800E2 0205215C
	v_add3_u32 v226, v92, v226, v229                           // 000000006464: D1FF00E2 0797C55C
	v_cndmask_b32_e64 v32, v226, v228, s[74:75]                // 00000000646C: D1000020 012BC9E2
	v_lshrrev_b32_e32 v32, 16, v32                             // 000000006474: 20404090
	v_cmp_u_f32_e64 s[74:75], v93, v93                         // 000000006478: D048004A 0002BB5D
	v_bfe_u32 v226, v93, 16, 1                                 // 000000006480: D1C800E2 0205215D
	v_add3_u32 v226, v93, v226, v229                           // 000000006488: D1FF00E2 0797C55D
	v_cndmask_b32_e64 v33, v226, v228, s[74:75]                // 000000006490: D1000021 012BC9E2
	v_and_or_b32 v84, v33, v227, v32                           // 000000006498: D2010054 0483C721
	v_cmp_u_f32_e64 s[74:75], v94, v94                         // 0000000064A0: D048004A 0002BD5E
	v_bfe_u32 v226, v94, 16, 1                                 // 0000000064A8: D1C800E2 0205215E
	v_add3_u32 v226, v94, v226, v229                           // 0000000064B0: D1FF00E2 0797C55E
	v_cndmask_b32_e64 v32, v226, v228, s[74:75]                // 0000000064B8: D1000020 012BC9E2
	v_lshrrev_b32_e32 v32, 16, v32                             // 0000000064C0: 20404090
	v_cmp_u_f32_e64 s[74:75], v95, v95                         // 0000000064C4: D048004A 0002BF5F
	v_bfe_u32 v226, v95, 16, 1                                 // 0000000064CC: D1C800E2 0205215F
	v_add3_u32 v226, v95, v226, v229                           // 0000000064D4: D1FF00E2 0797C55F
	v_cndmask_b32_e64 v33, v226, v228, s[74:75]                // 0000000064DC: D1000021 012BC9E2
	v_and_or_b32 v85, v33, v227, v32                           // 0000000064E4: D2010055 0483C721
	v_cmp_u_f32_e64 s[74:75], v96, v96                         // 0000000064EC: D048004A 0002C160
	v_bfe_u32 v226, v96, 16, 1                                 // 0000000064F4: D1C800E2 02052160
	v_add3_u32 v226, v96, v226, v229                           // 0000000064FC: D1FF00E2 0797C560
	v_cndmask_b32_e64 v32, v226, v228, s[74:75]                // 000000006504: D1000020 012BC9E2
	v_lshrrev_b32_e32 v32, 16, v32                             // 00000000650C: 20404090
	v_cmp_u_f32_e64 s[74:75], v97, v97                         // 000000006510: D048004A 0002C361
	v_bfe_u32 v226, v97, 16, 1                                 // 000000006518: D1C800E2 02052161
	v_add3_u32 v226, v97, v226, v229                           // 000000006520: D1FF00E2 0797C561
	v_cndmask_b32_e64 v33, v226, v228, s[74:75]                // 000000006528: D1000021 012BC9E2
	v_and_or_b32 v86, v33, v227, v32                           // 000000006530: D2010056 0483C721
	v_cmp_u_f32_e64 s[74:75], v98, v98                         // 000000006538: D048004A 0002C562
	v_bfe_u32 v226, v98, 16, 1                                 // 000000006540: D1C800E2 02052162
	v_add3_u32 v226, v98, v226, v229                           // 000000006548: D1FF00E2 0797C562
	v_cndmask_b32_e64 v32, v226, v228, s[74:75]                // 000000006550: D1000020 012BC9E2
	v_lshrrev_b32_e32 v32, 16, v32                             // 000000006558: 20404090
	v_cmp_u_f32_e64 s[74:75], v99, v99                         // 00000000655C: D048004A 0002C763
	v_bfe_u32 v226, v99, 16, 1                                 // 000000006564: D1C800E2 02052163
	v_add3_u32 v226, v99, v226, v229                           // 00000000656C: D1FF00E2 0797C563
	v_cndmask_b32_e64 v33, v226, v228, s[74:75]                // 000000006574: D1000021 012BC9E2
	v_and_or_b32 v87, v33, v227, v32                           // 00000000657C: D2010057 0483C721
	v_mfma_f32_16x16x16_bf16 v[190:193], v[138:139], v[170:171], v[190:193]// 000000006584: D3E100BE 06FB558A
	v_mov_b32_dpp v18, v82 quad_perm:[1,0,3,2] row_mask:0xf bank_mask:0xf// 00000000658C: 7E2402FA FF00B152
	v_perm_b32 v58, v18, v82, v17                              // 000000006594: D1ED003A 0446A512
	v_mov_b32_dpp v18, v83 quad_perm:[1,0,3,2] row_mask:0xf bank_mask:0xf// 00000000659C: 7E2402FA FF00B153
	v_perm_b32 v59, v18, v83, v17                              // 0000000065A4: D1ED003B 0446A712
	v_mov_b32_dpp v18, v84 quad_perm:[1,0,3,2] row_mask:0xf bank_mask:0xf// 0000000065AC: 7E2402FA FF00B154
	v_perm_b32 v60, v18, v84, v17                              // 0000000065B4: D1ED003C 0446A912
	v_mfma_f32_16x16x16_bf16 v[194:197], v[132:133], v[172:173], v[194:197]// 0000000065BC: D3E100C2 070B5984
	v_mov_b32_dpp v18, v85 quad_perm:[1,0,3,2] row_mask:0xf bank_mask:0xf// 0000000065C4: 7E2402FA FF00B155
	v_perm_b32 v61, v18, v85, v17                              // 0000000065CC: D1ED003D 0446AB12
	v_mov_b32_dpp v18, v86 quad_perm:[1,0,3,2] row_mask:0xf bank_mask:0xf// 0000000065D4: 7E2402FA FF00B156
	v_perm_b32 v62, v18, v86, v17                              // 0000000065DC: D1ED003E 0446AD12
	v_mov_b32_dpp v18, v87 quad_perm:[1,0,3,2] row_mask:0xf bank_mask:0xf// 0000000065E4: 7E2402FA FF00B157
	v_perm_b32 v63, v18, v87, v17                              // 0000000065EC: D1ED003F 0446AF12
	v_mfma_f32_16x16x16_bf16 v[198:201], v[134:135], v[172:173], v[198:201]// 0000000065F4: D3E100C6 071B5986
	ds_write_b32 v20, v58 offset:24320                         // 0000000065FC: D81A5F00 00003A14
	ds_write_b32 v20, v59 offset:24864                         // 000000006604: D81A6120 00003B14
	v_mfma_f32_16x16x16_bf16 v[202:205], v[136:137], v[172:173], v[202:205]// 00000000660C: D3E100CA 072B5988
	v_mfma_f32_16x16x16_bf16 v[206:209], v[138:139], v[172:173], v[206:209]// 000000006614: D3E100CE 073B598A
	ds_write_b32 v20, v60 offset:26624                         // 00000000661C: D81A6800 00003C14
	ds_write_b32 v20, v61 offset:27168                         // 000000006624: D81A6A20 00003D14
	ds_write_b32 v20, v62 offset:28928                         // 00000000662C: D81A7100 00003E14
	ds_write_b32 v20, v63 offset:29472                         // 000000006634: D81A7320 00003F14
	v_mfma_f32_16x16x16_bf16 v[210:213], v[132:133], v[174:175], v[210:213]// 00000000663C: D3E100D2 074B5D84
	v_mfma_f32_16x16x16_bf16 v[214:217], v[134:135], v[174:175], v[214:217]// 000000006644: D3E100D6 075B5D86
	ds_write_b32 v15, v100 offset:4352                         // 00000000664C: D81A1100 0000640F
	ds_write_b32 v15, v101 offset:5408                         // 000000006654: D81A1520 0000650F
	v_mfma_f32_16x16x16_bf16 v[218:221], v[136:137], v[174:175], v[218:221]// 00000000665C: D3E100DA 076B5D88
	s_nop 0                                                    // 000000006664: BF800000
	s_nop 0                                                    // 000000006668: BF800000
	s_nop 0                                                    // 00000000666C: BF800000
	v_mfma_f32_16x16x16_bf16 v[222:225], v[138:139], v[174:175], v[222:225]// 000000006670: D3E100DE 077B5D8A
	ds_write_b32 v15, v102 offset:6528                         // 000000006678: D81A1980 0000660F
	ds_write_b32 v15, v103 offset:7584                         // 000000006680: D81A1DA0 0000670F
	s_barrier                                                  // 000000006688: BF8A0000
	v_mfma_f32_16x16x16_bf16 a[112:115], a[96:97], v[76:77], a[112:115]// 00000000668C: D3E18070 0DC29960
	buffer_atomic_add_f32 v156, v6, s[32:35], 0 idxen          // 000000006694: E1342000 80089C06
	v_mfma_f32_16x16x16_bf16 a[116:119], a[98:99], v[76:77], a[116:119]// 00000000669C: D3E18074 0DD29962
	ds_read_b32 v140, v23 offset:39936                         // 0000000066A4: D86C9C00 8C000017
	ds_read_b32 v144, v23 offset:40000                         // 0000000066AC: D86C9C40 90000017
	ds_read_b32 v176, v23 offset:40192                         // 0000000066B4: D86C9D00 B0000017
	ds_read_b32 v177, v23 offset:40256                         // 0000000066BC: D86C9D40 B1000017
	v_mfma_f32_16x16x16_bf16 a[120:123], a[100:101], v[76:77], a[120:123]// 0000000066C4: D3E18078 0DE29964
	s_waitcnt lgkmcnt(8)                                       // 0000000066CC: BF8CC87F
	s_barrier                                                  // 0000000066D0: BF8A0000
	v_mfma_f32_16x16x16_bf16 a[124:127], a[102:103], v[76:77], a[124:127]// 0000000066D4: D3E1807C 0DF29966
	ds_read_b128 v[52:55], v19 offset:17408                    // 0000000066DC: D9FE4400 34000013
	v_mfma_f32_16x16x16_bf16 a[128:131], a[96:97], v[78:79], a[128:131]// 0000000066E4: D3E18080 0E029D60
	v_mfma_f32_16x16x16_bf16 a[132:135], a[98:99], v[78:79], a[132:135]// 0000000066EC: D3E18084 0E129D62
	ds_read_b128 v[56:59], v19 offset:18560                    // 0000000066F4: D9FE4880 38000013
	v_mfma_f32_16x16x16_bf16 a[136:139], a[100:101], v[78:79], a[136:139]// 0000000066FC: D3E18088 0E229D64
	buffer_atomic_add_f32 v157, v7, s[32:35], 0 idxen          // 000000006704: E1342000 80089D07
	v_mfma_f32_16x16x16_bf16 a[140:143], a[102:103], v[78:79], a[140:143]// 00000000670C: D3E1808C 0E329D66
	ds_read_b128 v[60:63], v19 offset:19712                    // 000000006714: D9FE4D00 3C000013
	v_mfma_f32_16x16x16_bf16 a[144:147], a[96:97], v[80:81], a[144:147]// 00000000671C: D3E18090 0E42A160
	v_mfma_f32_16x16x16_bf16 a[148:151], a[98:99], v[80:81], a[148:151]// 000000006724: D3E18094 0E52A162
	ds_read_b128 v[64:67], v19 offset:20864                    // 00000000672C: D9FE5180 40000013
	v_mfma_f32_16x16x16_bf16 a[152:155], a[100:101], v[80:81], a[152:155]// 000000006734: D3E18098 0E62A164
	v_mfma_f32_16x16x16_bf16 a[156:159], a[102:103], v[80:81], a[156:159]// 00000000673C: D3E1809C 0E72A166
	ds_read_b128 v[68:71], v19 offset:22016                    // 000000006744: D9FE5600 44000013
	v_mfma_f32_16x16x16_bf16 a[112:115], a[104:105], v[82:83], a[112:115]// 00000000674C: D3E18070 0DC2A568
	buffer_atomic_add_f32 v158, v6, s[32:35], 0 idxen offset:128// 000000006754: E1342080 80089E06
	v_mfma_f32_16x16x16_bf16 a[116:119], a[106:107], v[82:83], a[116:119]// 00000000675C: D3E18074 0DD2A56A
	ds_read_b128 v[72:75], v19 offset:23168                    // 000000006764: D9FE5A80 48000013
	v_mfma_f32_16x16x16_bf16 a[120:123], a[108:109], v[82:83], a[120:123]// 00000000676C: D3E18078 0DE2A56C
	v_mfma_f32_16x16x16_bf16 a[124:127], a[110:111], v[82:83], a[124:127]// 000000006774: D3E1807C 0DF2A56E
	ds_write_b32 v15, v104 offset:13056                        // 00000000677C: D81A3300 0000680F
	v_mfma_f32_16x16x16_bf16 a[128:131], a[104:105], v[84:85], a[128:131]// 000000006784: D3E18080 0E02A968
	v_mfma_f32_16x16x16_bf16 a[132:135], a[106:107], v[84:85], a[132:135]// 00000000678C: D3E18084 0E12A96A
	ds_write_b32 v15, v105 offset:14112                        // 000000006794: D81A3720 0000690F
	v_mfma_f32_16x16x16_bf16 a[136:139], a[108:109], v[84:85], a[136:139]// 00000000679C: D3E18088 0E22A96C
	buffer_atomic_add_f32 v159, v7, s[32:35], 0 idxen offset:128// 0000000067A4: E1342080 80089F07
	v_mfma_f32_16x16x16_bf16 a[140:143], a[110:111], v[84:85], a[140:143]// 0000000067AC: D3E1808C 0E32A96E
	ds_write_b32 v15, v106 offset:15232                        // 0000000067B4: D81A3B80 00006A0F
	v_mfma_f32_16x16x16_bf16 a[144:147], a[104:105], v[86:87], a[144:147]// 0000000067BC: D3E18090 0E42AD68
	v_mfma_f32_16x16x16_bf16 a[148:151], a[106:107], v[86:87], a[148:151]// 0000000067C4: D3E18094 0E52AD6A
	ds_write_b32 v15, v107 offset:16288                        // 0000000067CC: D81A3FA0 00006B0F
	v_mfma_f32_16x16x16_bf16 a[152:155], a[108:109], v[86:87], a[152:155]// 0000000067D4: D3E18098 0E62AD6C
	v_mfma_f32_16x16x16_bf16 a[156:159], a[110:111], v[86:87], a[156:159]// 0000000067DC: D3E1809C 0E72AD6E
	s_waitcnt vmcnt(8) lgkmcnt(4)                              // 0000000067E4: BF8C0478
	s_barrier                                                  // 0000000067E8: BF8A0000
	v_mfma_f32_16x16x16_bf16 v[148:151], v[52:53], a[24:25], 0 // 0000000067EC: D3E10094 12023134
	v_mul_f32_e32 v140, s48, v140                              // 0000000067F4: 0B191830
	v_mul_f32_e32 v144, s48, v144                              // 0000000067F8: 0B212030
	s_nop 0                                                    // 0000000067FC: BF800000
	v_mfma_f32_16x16x16_bf16 v[148:151], v[54:55], a[28:29], v[148:151]// 000000006800: D3E10094 16523936
	ds_read_b128 a[96:99], v12                                 // 000000006808: DBFE0000 6000000C
	buffer_load_dword v40, v1, s[8:11], 0 idxen                // 000000006810: E0502000 80022801
	v_mfma_f32_16x16x16_bf16 v[148:151], v[56:57], a[32:33], v[148:151]// 000000006818: D3E10094 16524138
	v_mfma_f32_16x16x16_bf16 v[148:151], v[58:59], a[36:37], v[148:151]// 000000006820: D3E10094 1652493A
	ds_read_b128 a[100:103], v12 offset:512                    // 000000006828: DBFE0200 6400000C
	buffer_load_dword v41, v2, s[8:11], 0 idxen                // 000000006830: E0502000 80022902
	v_mfma_f32_16x16x16_bf16 v[148:151], v[60:61], a[40:41], v[148:151]// 000000006838: D3E10094 1652513C
	v_perm_b32 v100, v37, v36, s63                             // 000000006840: D1ED0064 00FE4925
	v_perm_b32 v101, v37, v36, s64                             // 000000006848: D1ED0065 01024925
	v_mfma_f32_16x16x16_bf16 v[148:151], v[62:63], a[44:45], v[148:151]// 000000006850: D3E10094 1652593E
	ds_read_b128 a[104:107], v12 offset:2176                   // 000000006858: DBFE0880 6800000C
	buffer_load_dword v42, v3, s[8:11], 0 idxen                // 000000006860: E0502000 80022A03
	v_mfma_f32_16x16x16_bf16 v[148:151], v[64:65], a[48:49], v[148:151]// 000000006868: D3E10094 16526140
	v_perm_b32 v102, v39, v38, s63                             // 000000006870: D1ED0066 00FE4D27
	v_perm_b32 v103, v39, v38, s64                             // 000000006878: D1ED0067 01024D27
	v_mfma_f32_16x16x16_bf16 v[148:151], v[66:67], a[52:53], v[148:151]// 000000006880: D3E10094 16526942
	ds_read_b128 a[108:111], v12 offset:2688                   // 000000006888: DBFE0A80 6C00000C
	buffer_load_dword v43, v4, s[8:11], 0 idxen                // 000000006890: E0502000 80022B04
	v_mfma_f32_16x16x16_bf16 v[148:151], v[68:69], a[56:57], v[148:151]// 000000006898: D3E10094 16527144
	v_perm_b32 v104, v45, v44, s63                             // 0000000068A0: D1ED0068 00FE592D
	v_perm_b32 v105, v45, v44, s64                             // 0000000068A8: D1ED0069 0102592D
	v_mfma_f32_16x16x16_bf16 v[148:151], v[70:71], a[60:61], v[148:151]// 0000000068B0: D3E10094 16527946
	ds_read_b128 v[108:111], v12 offset:8704                   // 0000000068B8: D9FE2200 6C00000C
	buffer_load_dword v48, v231, s[20:23], 0 idxen             // 0000000068C0: E0502000 800530E7
	v_mfma_f32_16x16x16_bf16 v[148:151], v[72:73], a[64:65], v[148:151]// 0000000068C8: D3E10094 16528148
	v_perm_b32 v106, v47, v46, s63                             // 0000000068D0: D1ED006A 00FE5D2F
	v_perm_b32 v107, v47, v46, s64                             // 0000000068D8: D1ED006B 01025D2F
	v_mfma_f32_16x16x16_bf16 v[148:151], v[74:75], a[68:69], v[148:151]// 0000000068E0: D3E10094 1652894A
	ds_read_b128 v[112:115], v12 offset:9216                   // 0000000068E8: D9FE2400 7000000C
	buffer_load_dword v49, v232, s[20:23], 0 idxen             // 0000000068F0: E0502000 800531E8
	v_mfma_f32_16x16x16_bf16 v[152:155], v[52:53], a[26:27], 0 // 0000000068F8: D3E10098 12023534
	v_mov_b32_dpp v143, v140 quad_perm:[3,3,3,3] row_mask:0xf bank_mask:0xf// 000000006900: 7F1E02FA FF00FF8C
	v_mov_b32_dpp v142, v140 quad_perm:[2,2,2,2] row_mask:0xf bank_mask:0xf// 000000006908: 7F1C02FA FF00AA8C
	v_mov_b32_dpp v141, v140 quad_perm:[1,1,1,1] row_mask:0xf bank_mask:0xf// 000000006910: 7F1A02FA FF00558C
	v_mov_b32_dpp v140, v140 quad_perm:[0,0,0,0] row_mask:0xf bank_mask:0xf// 000000006918: 7F1802FA FF00008C
	v_mfma_f32_16x16x16_bf16 v[152:155], v[54:55], a[30:31], v[152:155]// 000000006920: D3E10098 16623D36
	ds_read_b128 v[116:119], v12 offset:10880                  // 000000006928: D9FE2A80 7400000C
	buffer_load_dword v50, v233, s[20:23], 0 idxen             // 000000006930: E0502000 800532E9
	v_mfma_f32_16x16x16_bf16 v[152:155], v[56:57], a[34:35], v[152:155]// 000000006938: D3E10098 16624538
	v_mov_b32_dpp v147, v144 quad_perm:[3,3,3,3] row_mask:0xf bank_mask:0xf// 000000006940: 7F2602FA FF00FF90
	v_mov_b32_dpp v146, v144 quad_perm:[2,2,2,2] row_mask:0xf bank_mask:0xf// 000000006948: 7F2402FA FF00AA90
	v_mov_b32_dpp v145, v144 quad_perm:[1,1,1,1] row_mask:0xf bank_mask:0xf// 000000006950: 7F2202FA FF005590
	v_mov_b32_dpp v144, v144 quad_perm:[0,0,0,0] row_mask:0xf bank_mask:0xf// 000000006958: 7F2002FA FF000090
	s_add_u32 s60, 0x80, s59                                   // 000000006960: 803C3BFF 00000080
	v_mfma_f32_16x16x16_bf16 v[152:155], v[58:59], a[38:39], v[152:155]// 000000006968: D3E10098 16624D3A
	ds_read_b128 v[120:123], v12 offset:11392                  // 000000006970: D9FE2C80 7800000C
	buffer_load_dword v51, v234, s[20:23], 0 idxen             // 000000006978: E0502000 800533EA
	v_mfma_f32_16x16x16_bf16 v[152:155], v[60:61], a[42:43], v[152:155]// 000000006980: D3E10098 1662553C
	s_cmp_lt_u32 s60, s58                                      // 000000006988: BF0A3A3C
	s_cselect_b32 s68, s68, 0                                  // 00000000698C: 85448044
	s_cselect_b32 s81, s81, 0                                  // 000000006990: 85518051
	s_cselect_b32 s69, s69, 0                                  // 000000006994: 85458045
	v_mfma_f32_16x16x16_bf16 v[152:155], v[62:63], a[46:47], v[152:155]// 000000006998: D3E10098 16625D3E
	buffer_load_dword v11, s[24:27], 0 idxen lds               // 0000000069A0: E0512000 8006000B
	v_mfma_f32_16x16x16_bf16 v[152:155], v[64:65], a[50:51], v[152:155]// 0000000069A8: D3E10098 16626540
	v_add_u32_e32 v1, s68, v1                                  // 0000000069B0: 68020244
	v_add_u32_e32 v2, s68, v2                                  // 0000000069B4: 68040444
	v_add_u32_e32 v3, s68, v3                                  // 0000000069B8: 68060644
	v_add_u32_e32 v4, s68, v4                                  // 0000000069BC: 68080844
	v_mfma_f32_16x16x16_bf16 v[152:155], v[66:67], a[54:55], v[152:155]// 0000000069C0: D3E10098 16626D42
	v_add_u32_e32 v231, s81, v231                              // 0000000069C8: 69CFCE51
	v_add_u32_e32 v232, s81, v232                              // 0000000069CC: 69D1D051
	v_add_u32_e32 v233, s81, v233                              // 0000000069D0: 69D3D251
	v_add_u32_e32 v234, s81, v234                              // 0000000069D4: 69D5D451
	v_mfma_f32_16x16x16_bf16 v[152:155], v[68:69], a[58:59], v[152:155]// 0000000069D8: D3E10098 16627544
	s_mov_b32 m0, s76                                          // 0000000069E0: BEFC004C
	v_add_u32_e32 v11, s69, v11                                // 0000000069E4: 68161645
	v_mfma_f32_16x16x16_bf16 v[152:155], v[70:71], a[62:63], v[152:155]// 0000000069E8: D3E10098 16627D46
	s_cmp_ge_u32 s59, 32                                       // 0000000069F0: BF09A03B
	s_cselect_b32 s66, s67, s66                                // 0000000069F4: 85424243
	v_mfma_f32_16x16x16_bf16 v[152:155], v[72:73], a[66:67], v[152:155]// 0000000069F8: D3E10098 16628548
	s_addk_i32 s59, 0x20                                       // 000000006A00: B73B0020
	s_nop 0                                                    // 000000006A04: BF800000
	s_cmp_lt_i32 s59, s58                                      // 000000006A08: BF043A3B
	v_mfma_f32_16x16x16_bf16 v[152:155], v[74:75], a[70:71], v[152:155]// 000000006A0C: D3E10098 16628D4A
	s_cbranch_scc0 label_0FF2                                  // 000000006A14: BF8404DA
	s_waitcnt lgkmcnt(4)                                       // 000000006A18: BF8CC47F
	s_barrier                                                  // 000000006A1C: BF8A0000
	v_mfma_f32_16x16x16_bf16 v[52:55], a[96:97], a[0:1], 0     // 000000006A20: D3E10034 1A020160
	ds_write_b32 v13, v44 offset:8704                          // 000000006A28: D81A2200 00002C0D
	ds_write_b32 v13, v45 offset:9760                          // 000000006A30: D81A2620 00002D0D
	v_mfma_f32_16x16x16_bf16 v[52:55], a[98:99], a[2:3], v[52:55]// 000000006A38: D3E10034 1CD20562
	v_mul_f32_e32 v148, s47, v148                              // 000000006A40: 0B29282F
	v_mul_f32_e32 v149, s47, v149                              // 000000006A44: 0B2B2A2F
	v_mfma_f32_16x16x16_bf16 v[52:55], a[100:101], a[4:5], v[52:55]// 000000006A48: D3E10034 1CD20964
	ds_write_b32 v13, v46 offset:10880                         // 000000006A50: D81A2A80 00002E0D
	ds_write_b32 v13, v47 offset:11936                         // 000000006A58: D81A2EA0 00002F0D
	v_mfma_f32_16x16x16_bf16 v[52:55], a[102:103], a[6:7], v[52:55]// 000000006A60: D3E10034 1CD20D66
	v_mul_f32_e32 v150, s47, v150                              // 000000006A68: 0B2D2C2F
	v_mul_f32_e32 v151, s47, v151                              // 000000006A6C: 0B2F2E2F
	v_mfma_f32_16x16x16_bf16 v[56:59], a[96:97], a[8:9], 0     // 000000006A70: D3E10038 1A021160
	ds_write_b64 v22, v[148:149] offset:31232                  // 000000006A78: D89A7A00 00009416
	v_mfma_f32_16x16x16_bf16 v[56:59], a[98:99], a[10:11], v[56:59]// 000000006A80: D3E10038 1CE21562
	v_mul_f32_e32 v152, s47, v152                              // 000000006A88: 0B31302F
	v_mul_f32_e32 v153, s47, v153                              // 000000006A8C: 0B33322F
	v_mfma_f32_16x16x16_bf16 v[56:59], a[100:101], a[12:13], v[56:59]// 000000006A90: D3E10038 1CE21964
	ds_write_b64 v22, v[150:151] offset:31744                  // 000000006A98: D89A7C00 00009616
	v_mfma_f32_16x16x16_bf16 v[56:59], a[102:103], a[14:15], v[56:59]// 000000006AA0: D3E10038 1CE21D66
	v_mul_f32_e32 v154, s47, v154                              // 000000006AA8: 0B35342F
	v_mul_f32_e32 v155, s47, v155                              // 000000006AAC: 0B37362F
	v_mfma_f32_16x16x16_bf16 v[60:63], a[96:97], a[16:17], 0   // 000000006AB0: D3E1003C 1A022160
	ds_write_b64 v22, v[152:153] offset:32256                  // 000000006AB8: D89A7E00 00009816
	v_mfma_f32_16x16x16_bf16 v[60:63], a[98:99], a[18:19], v[60:63]// 000000006AC0: D3E1003C 1CF22562
	buffer_atomic_add_f32 v160, v8, s[32:35], 0 idxen          // 000000006AC8: E1342000 8008A008
	v_mfma_f32_16x16x16_bf16 v[60:63], a[100:101], a[20:21], v[60:63]// 000000006AD0: D3E1003C 1CF22964
	ds_write_b64 v22, v[154:155] offset:32768                  // 000000006AD8: D89A8000 00009A16
	v_mfma_f32_16x16x16_bf16 v[60:63], a[102:103], a[22:23], v[60:63]// 000000006AE0: D3E1003C 1CF22D66
	v_mfma_f32_16x16x16_bf16 v[64:67], a[104:105], a[0:1], 0   // 000000006AE8: D3E10040 1A020168
	ds_read_b128 v[124:127], v14 offset:13056                  // 000000006AF0: D9FE3300 7C00000E
	ds_write_b32 v13, v36                                      // 000000006AF8: D81A0000 0000240D
	v_mfma_f32_16x16x16_bf16 v[64:67], a[106:107], a[2:3], v[64:67]// 000000006B00: D3E10040 1D02056A
	buffer_atomic_add_f32 v161, v9, s[32:35], 0 idxen          // 000000006B08: E1342000 8008A109
	v_mfma_f32_16x16x16_bf16 v[64:67], a[108:109], a[4:5], v[64:67]// 000000006B10: D3E10040 1D02096C
	v_mfma_f32_16x16x16_bf16 v[64:67], a[110:111], a[6:7], v[64:67]// 000000006B18: D3E10040 1D020D6E
	ds_read_b128 v[128:131], v14 offset:13568                  // 000000006B20: D9FE3500 8000000E
	ds_write_b32 v13, v37 offset:1056                          // 000000006B28: D81A0420 0000250D
	v_mfma_f32_16x16x16_bf16 v[68:71], a[104:105], a[8:9], 0   // 000000006B30: D3E10044 1A021168
	buffer_atomic_add_f32 v162, v8, s[32:35], 0 idxen offset:128// 000000006B38: E1342080 8008A208
	v_mfma_f32_16x16x16_bf16 v[68:71], a[106:107], a[10:11], v[68:71]// 000000006B40: D3E10044 1D12156A
	v_mfma_f32_16x16x16_bf16 v[68:71], a[108:109], a[12:13], v[68:71]// 000000006B48: D3E10044 1D12196C
	ds_read_b128 v[132:135], v14 offset:15232                  // 000000006B50: D9FE3B80 8400000E
	ds_write_b32 v13, v38 offset:2176                          // 000000006B58: D81A0880 0000260D
	v_mfma_f32_16x16x16_bf16 v[68:71], a[110:111], a[14:15], v[68:71]// 000000006B60: D3E10044 1D121D6E
	v_mfma_f32_16x16x16_bf16 v[72:75], a[104:105], a[16:17], 0 // 000000006B68: D3E10048 1A022168
	buffer_atomic_add_f32 v163, v9, s[32:35], 0 idxen offset:128// 000000006B70: E1342080 8008A309
	v_mfma_f32_16x16x16_bf16 v[72:75], a[106:107], a[18:19], v[72:75]// 000000006B78: D3E10048 1D22256A
	ds_read_b128 v[136:139], v14 offset:15744                  // 000000006B80: D9FE3D80 8800000E
	ds_write_b32 v13, v39 offset:3232                          // 000000006B88: D81A0CA0 0000270D
	v_mfma_f32_16x16x16_bf16 v[72:75], a[108:109], a[20:21], v[72:75]// 000000006B90: D3E10048 1D22296C
	v_mfma_f32_16x16x16_bf16 v[72:75], a[110:111], a[22:23], v[72:75]// 000000006B98: D3E10048 1D222D6E
	s_cmp_lt_i32 s83, 0xc0                                     // 000000006BA0: BF04FF53 000000C0
	s_cbranch_scc0 label_0BEA                                  // 000000006BA8: BF84006D
	s_cmp_le_i32 s83, 64                                       // 000000006BAC: BF05C053
	s_cbranch_scc1 label_0B7D                                  // 000000006BB0: BF850007
	s_cmp_le_i32 s83, 0x80                                     // 000000006BB4: BF05FF53 00000080
	s_cbranch_scc1 label_0BA1                                  // 000000006BBC: BF85001F
	s_cmp_lt_i32 s83, 0xc0                                     // 000000006BC0: BF04FF53 000000C0
	s_cbranch_scc1 label_0BC5                                  // 000000006BC8: BF850040
	s_branch label_0BEA                                        // 000000006BCC: BF820064

0000000000006bd0 <label_0B7D>:
	s_mov_b32 s60, 0                                           // 000000006BD0: BEBC0080
	v_and_b32_e32 v32, 15, v0                                  // 000000006BD4: 2640008F
	v_add_u32_e64 v32, v32, s60                                // 000000006BD8: D1340020 00007920
	v_mul_i32_i24_e64 v33, s46, 16                             // 000000006BE0: D1060021 0001202E
	v_add_u32_e32 v32, v32, v33                                // 000000006BE8: 68404320
	v_cmp_lt_u32_e64 s[60:61], v32, s83                        // 000000006BEC: D0C9003C 0000A720
	s_nop 1                                                    // 000000006BF4: BF800001
	v_cndmask_b32_e64 v52, v230, v52, s[60:61]                 // 000000006BF8: D1000034 00F269E6
	v_cndmask_b32_e64 v64, v230, v64, s[60:61]                 // 000000006C00: D1000040 00F281E6
	v_cndmask_b32_e64 v53, v230, v53, s[60:61]                 // 000000006C08: D1000035 00F26BE6
	v_cndmask_b32_e64 v65, v230, v65, s[60:61]                 // 000000006C10: D1000041 00F283E6
	v_cndmask_b32_e64 v54, v230, v54, s[60:61]                 // 000000006C18: D1000036 00F26DE6
	v_cndmask_b32_e64 v66, v230, v66, s[60:61]                 // 000000006C20: D1000042 00F285E6
	v_cndmask_b32_e64 v55, v230, v55, s[60:61]                 // 000000006C28: D1000037 00F26FE6
	v_cndmask_b32_e64 v67, v230, v67, s[60:61]                 // 000000006C30: D1000043 00F287E6
	s_branch label_0BBC                                        // 000000006C38: BF82001B

0000000000006c3c <label_0BA1>:
	s_mov_b32 s60, 64                                          // 000000006C3C: BEBC00C0
	v_and_b32_e32 v32, 15, v0                                  // 000000006C40: 2640008F
	v_add_u32_e64 v32, v32, s60                                // 000000006C44: D1340020 00007920
	v_mul_i32_i24_e64 v33, s46, 16                             // 000000006C4C: D1060021 0001202E
	v_add_u32_e32 v32, v32, v33                                // 000000006C54: 68404320
	v_cmp_lt_u32_e64 s[60:61], v32, s83                        // 000000006C58: D0C9003C 0000A720
	s_nop 1                                                    // 000000006C60: BF800001
	v_cndmask_b32_e64 v56, v230, v56, s[60:61]                 // 000000006C64: D1000038 00F271E6
	v_cndmask_b32_e64 v68, v230, v68, s[60:61]                 // 000000006C6C: D1000044 00F289E6
	v_cndmask_b32_e64 v57, v230, v57, s[60:61]                 // 000000006C74: D1000039 00F273E6
	v_cndmask_b32_e64 v69, v230, v69, s[60:61]                 // 000000006C7C: D1000045 00F28BE6
	v_cndmask_b32_e64 v58, v230, v58, s[60:61]                 // 000000006C84: D100003A 00F275E6
	v_cndmask_b32_e64 v70, v230, v70, s[60:61]                 // 000000006C8C: D1000046 00F28DE6
	v_cndmask_b32_e64 v59, v230, v59, s[60:61]                 // 000000006C94: D100003B 00F277E6
	v_cndmask_b32_e64 v71, v230, v71, s[60:61]                 // 000000006C9C: D1000047 00F28FE6
	s_branch label_0BE1                                        // 000000006CA4: BF820025

0000000000006ca8 <label_0BBC>:
	v_mov_b32_e32 v56, v230                                    // 000000006CA8: 7E7003E6
	v_mov_b32_e32 v68, v230                                    // 000000006CAC: 7E8803E6
	v_mov_b32_e32 v57, v230                                    // 000000006CB0: 7E7203E6
	v_mov_b32_e32 v69, v230                                    // 000000006CB4: 7E8A03E6
	v_mov_b32_e32 v58, v230                                    // 000000006CB8: 7E7403E6
	v_mov_b32_e32 v70, v230                                    // 000000006CBC: 7E8C03E6
	v_mov_b32_e32 v59, v230                                    // 000000006CC0: 7E7603E6
	v_mov_b32_e32 v71, v230                                    // 000000006CC4: 7E8E03E6
	s_branch label_0BE1                                        // 000000006CC8: BF82001C

0000000000006ccc <label_0BC5>:
	s_mov_b32 s60, 0x80                                        // 000000006CCC: BEBC00FF 00000080
	v_and_b32_e32 v32, 15, v0                                  // 000000006CD4: 2640008F
	v_add_u32_e64 v32, v32, s60                                // 000000006CD8: D1340020 00007920
	v_mul_i32_i24_e64 v33, s46, 16                             // 000000006CE0: D1060021 0001202E
	v_add_u32_e32 v32, v32, v33                                // 000000006CE8: 68404320
	v_cmp_lt_u32_e64 s[60:61], v32, s83                        // 000000006CEC: D0C9003C 0000A720
	s_nop 1                                                    // 000000006CF4: BF800001
	v_cndmask_b32_e64 v60, v230, v60, s[60:61]                 // 000000006CF8: D100003C 00F279E6
	v_cndmask_b32_e64 v72, v230, v72, s[60:61]                 // 000000006D00: D1000048 00F291E6
	v_cndmask_b32_e64 v61, v230, v61, s[60:61]                 // 000000006D08: D100003D 00F27BE6
	v_cndmask_b32_e64 v73, v230, v73, s[60:61]                 // 000000006D10: D1000049 00F293E6
	v_cndmask_b32_e64 v62, v230, v62, s[60:61]                 // 000000006D18: D100003E 00F27DE6
	v_cndmask_b32_e64 v74, v230, v74, s[60:61]                 // 000000006D20: D100004A 00F295E6
	v_cndmask_b32_e64 v63, v230, v63, s[60:61]                 // 000000006D28: D100003F 00F27FE6
	v_cndmask_b32_e64 v75, v230, v75, s[60:61]                 // 000000006D30: D100004B 00F297E6
	s_branch label_0BEA                                        // 000000006D38: BF820009

0000000000006d3c <label_0BE1>:
	v_mov_b32_e32 v60, v230                                    // 000000006D3C: 7E7803E6
	v_mov_b32_e32 v72, v230                                    // 000000006D40: 7E9003E6
	v_mov_b32_e32 v61, v230                                    // 000000006D44: 7E7A03E6
	v_mov_b32_e32 v73, v230                                    // 000000006D48: 7E9203E6
	v_mov_b32_e32 v62, v230                                    // 000000006D4C: 7E7C03E6
	v_mov_b32_e32 v74, v230                                    // 000000006D50: 7E9403E6
	v_mov_b32_e32 v63, v230                                    // 000000006D54: 7E7E03E6
	v_mov_b32_e32 v75, v230                                    // 000000006D58: 7E9603E6
	s_branch label_0BEA                                        // 000000006D5C: BF820000

0000000000006d60 <label_0BEA>:
	s_waitcnt lgkmcnt(8)                                       // 000000006D60: BF8CC87F
	s_barrier                                                  // 000000006D64: BF8A0000
	v_mfma_f32_16x16x16_bf16 v[76:79], v[108:109], a[72:73], 0 // 000000006D68: D3E1004C 1202916C
	ds_read_b128 a[96:99], v14 offset:4352                     // 000000006D70: DBFE1100 6000000E
	ds_read_b128 a[100:103], v14 offset:4864                   // 000000006D78: DBFE1300 6400000E
	v_mfma_f32_16x16x16_bf16 v[76:79], v[110:111], a[74:75], v[76:79]// 000000006D80: D3E1004C 1532956E
	v_fma_f32 v52, v52, s57, -v140                             // 000000006D88: D1CB0034 86307334
	v_fma_f32 v53, v53, s57, -v141                             // 000000006D90: D1CB0035 86347335
	v_fma_f32 v54, v54, s57, -v142                             // 000000006D98: D1CB0036 86387336
	v_fma_f32 v55, v55, s57, -v143                             // 000000006DA0: D1CB0037 863C7337
	v_fma_f32 v56, v56, s57, -v140                             // 000000006DA8: D1CB0038 86307338
	v_fma_f32 v57, v57, s57, -v141                             // 000000006DB0: D1CB0039 86347339
	v_mfma_f32_16x16x16_bf16 v[76:79], v[112:113], a[76:77], v[76:79]// 000000006DB8: D3E1004C 15329970
	v_fma_f32 v58, v58, s57, -v142                             // 000000006DC0: D1CB003A 8638733A
	v_fma_f32 v59, v59, s57, -v143                             // 000000006DC8: D1CB003B 863C733B
	v_fma_f32 v60, v60, s57, -v140                             // 000000006DD0: D1CB003C 8630733C
	v_fma_f32 v61, v61, s57, -v141                             // 000000006DD8: D1CB003D 8634733D
	v_fma_f32 v62, v62, s57, -v142                             // 000000006DE0: D1CB003E 8638733E
	v_fma_f32 v63, v63, s57, -v143                             // 000000006DE8: D1CB003F 863C733F
	v_mfma_f32_16x16x16_bf16 v[76:79], v[114:115], a[78:79], v[76:79]// 000000006DF0: D3E1004C 15329D72
	v_fma_f32 v64, v64, s57, -v144                             // 000000006DF8: D1CB0040 86407340
	v_fma_f32 v65, v65, s57, -v145                             // 000000006E00: D1CB0041 86447341
	v_fma_f32 v66, v66, s57, -v146                             // 000000006E08: D1CB0042 86487342
	v_fma_f32 v67, v67, s57, -v147                             // 000000006E10: D1CB0043 864C7343
	v_fma_f32 v68, v68, s57, -v144                             // 000000006E18: D1CB0044 86407344
	v_fma_f32 v69, v69, s57, -v145                             // 000000006E20: D1CB0045 86447345
	v_mfma_f32_16x16x16_bf16 v[80:83], v[108:109], a[80:81], 0 // 000000006E28: D3E10050 1202A16C
	ds_read_b128 a[104:107], v14 offset:6528                   // 000000006E30: DBFE1980 6800000E
	ds_read_b128 a[108:111], v14 offset:7040                   // 000000006E38: DBFE1B80 6C00000E
	v_mfma_f32_16x16x16_bf16 v[80:83], v[110:111], a[82:83], v[80:83]// 000000006E40: D3E10050 1542A56E
	v_fma_f32 v70, v70, s57, -v146                             // 000000006E48: D1CB0046 86487346
	v_fma_f32 v71, v71, s57, -v147                             // 000000006E50: D1CB0047 864C7347
	v_fma_f32 v72, v72, s57, -v144                             // 000000006E58: D1CB0048 86407348
	v_fma_f32 v73, v73, s57, -v145                             // 000000006E60: D1CB0049 86447349
	v_fma_f32 v74, v74, s57, -v146                             // 000000006E68: D1CB004A 8648734A
	v_fma_f32 v75, v75, s57, -v147                             // 000000006E70: D1CB004B 864C734B
	v_mfma_f32_16x16x16_bf16 v[80:83], v[112:113], a[84:85], v[80:83]// 000000006E78: D3E10050 1542A970
	v_exp_f32_e32 v52, v52                                     // 000000006E80: 7E684134
	v_exp_f32_e32 v53, v53                                     // 000000006E84: 7E6A4135
	v_mfma_f32_16x16x16_bf16 v[80:83], v[114:115], a[86:87], v[80:83]// 000000006E88: D3E10050 1542AD72
	v_exp_f32_e32 v54, v54                                     // 000000006E90: 7E6C4136
	v_exp_f32_e32 v55, v55                                     // 000000006E94: 7E6E4137
	v_mfma_f32_16x16x16_bf16 v[84:87], v[108:109], a[88:89], 0 // 000000006E98: D3E10054 1202B16C
	ds_read_b64 v[156:157], v21 offset:31232                   // 000000006EA0: D8EC7A00 9C000015
	ds_read_b64 v[158:159], v21 offset:33280                   // 000000006EA8: D8EC8200 9E000015
	v_mfma_f32_16x16x16_bf16 v[84:87], v[110:111], a[90:91], v[84:87]// 000000006EB0: D3E10054 1552B56E
	v_exp_f32_e32 v56, v56                                     // 000000006EB8: 7E704138
	v_exp_f32_e32 v57, v57                                     // 000000006EBC: 7E724139
	v_mfma_f32_16x16x16_bf16 v[84:87], v[112:113], a[92:93], v[84:87]// 000000006EC0: D3E10054 1552B970
	ds_read_b64 v[160:161], v21 offset:35328                   // 000000006EC8: D8EC8A00 A0000015
	ds_read_b64 v[162:163], v21 offset:37376                   // 000000006ED0: D8EC9200 A2000015
	v_mfma_f32_16x16x16_bf16 v[84:87], v[114:115], a[94:95], v[84:87]// 000000006ED8: D3E10054 1552BD72
	v_exp_f32_e32 v58, v58                                     // 000000006EE0: 7E74413A
	v_exp_f32_e32 v59, v59                                     // 000000006EE4: 7E76413B
	v_mfma_f32_16x16x16_bf16 v[88:91], v[116:117], a[72:73], 0 // 000000006EE8: D3E10058 12029174
	v_exp_f32_e32 v60, v60                                     // 000000006EF0: 7E78413C
	v_exp_f32_e32 v61, v61                                     // 000000006EF4: 7E7A413D
	v_mfma_f32_16x16x16_bf16 v[88:91], v[118:119], a[74:75], v[88:91]// 000000006EF8: D3E10058 15629576
	v_exp_f32_e32 v62, v62                                     // 000000006F00: 7E7C413E
	v_exp_f32_e32 v63, v63                                     // 000000006F04: 7E7E413F
	v_mfma_f32_16x16x16_bf16 v[88:91], v[120:121], a[76:77], v[88:91]// 000000006F08: D3E10058 15629978
	v_exp_f32_e32 v64, v64                                     // 000000006F10: 7E804140
	v_exp_f32_e32 v65, v65                                     // 000000006F14: 7E824141
	v_mfma_f32_16x16x16_bf16 v[88:91], v[122:123], a[78:79], v[88:91]// 000000006F18: D3E10058 15629D7A
	v_exp_f32_e32 v66, v66                                     // 000000006F20: 7E844142
	v_exp_f32_e32 v67, v67                                     // 000000006F24: 7E864143
	v_mfma_f32_16x16x16_bf16 v[92:95], v[116:117], a[80:81], 0 // 000000006F28: D3E1005C 1202A174
	v_exp_f32_e32 v68, v68                                     // 000000006F30: 7E884144
	v_exp_f32_e32 v69, v69                                     // 000000006F34: 7E8A4145
	v_mfma_f32_16x16x16_bf16 v[92:95], v[118:119], a[82:83], v[92:95]// 000000006F38: D3E1005C 1572A576
	v_exp_f32_e32 v70, v70                                     // 000000006F40: 7E8C4146
	v_exp_f32_e32 v71, v71                                     // 000000006F44: 7E8E4147
	v_mfma_f32_16x16x16_bf16 v[92:95], v[120:121], a[84:85], v[92:95]// 000000006F48: D3E1005C 1572A978
	v_exp_f32_e32 v72, v72                                     // 000000006F50: 7E904148
	v_exp_f32_e32 v73, v73                                     // 000000006F54: 7E924149
	v_mfma_f32_16x16x16_bf16 v[92:95], v[122:123], a[86:87], v[92:95]// 000000006F58: D3E1005C 1572AD7A
	v_exp_f32_e32 v74, v74                                     // 000000006F60: 7E94414A
	v_exp_f32_e32 v75, v75                                     // 000000006F64: 7E96414B
	v_mfma_f32_16x16x16_bf16 v[96:99], v[116:117], a[88:89], 0 // 000000006F68: D3E10060 1202B174
	v_cmp_u_f32_e64 s[74:75], v52, v52                         // 000000006F70: D048004A 00026934
	v_bfe_u32 v226, v52, 16, 1                                 // 000000006F78: D1C800E2 02052134
	v_add3_u32 v226, v52, v226, v229                           // 000000006F80: D1FF00E2 0797C534
	v_cndmask_b32_e64 v32, v226, v228, s[74:75]                // 000000006F88: D1000020 012BC9E2
	v_lshrrev_b32_e32 v32, 16, v32                             // 000000006F90: 20404090
	v_cmp_u_f32_e64 s[74:75], v53, v53                         // 000000006F94: D048004A 00026B35
	v_bfe_u32 v226, v53, 16, 1                                 // 000000006F9C: D1C800E2 02052135
	v_add3_u32 v226, v53, v226, v229                           // 000000006FA4: D1FF00E2 0797C535
	v_cndmask_b32_e64 v33, v226, v228, s[74:75]                // 000000006FAC: D1000021 012BC9E2
	v_and_or_b32 v164, v33, v227, v32                          // 000000006FB4: D20100A4 0483C721
	v_cmp_u_f32_e64 s[74:75], v54, v54                         // 000000006FBC: D048004A 00026D36
	v_bfe_u32 v226, v54, 16, 1                                 // 000000006FC4: D1C800E2 02052136
	v_add3_u32 v226, v54, v226, v229                           // 000000006FCC: D1FF00E2 0797C536
	v_cndmask_b32_e64 v32, v226, v228, s[74:75]                // 000000006FD4: D1000020 012BC9E2
	v_lshrrev_b32_e32 v32, 16, v32                             // 000000006FDC: 20404090
	v_cmp_u_f32_e64 s[74:75], v55, v55                         // 000000006FE0: D048004A 00026F37
	v_bfe_u32 v226, v55, 16, 1                                 // 000000006FE8: D1C800E2 02052137
	v_add3_u32 v226, v55, v226, v229                           // 000000006FF0: D1FF00E2 0797C537
	v_cndmask_b32_e64 v33, v226, v228, s[74:75]                // 000000006FF8: D1000021 012BC9E2
	v_and_or_b32 v165, v33, v227, v32                          // 000000007000: D20100A5 0483C721
	v_cmp_u_f32_e64 s[74:75], v56, v56                         // 000000007008: D048004A 00027138
	v_bfe_u32 v226, v56, 16, 1                                 // 000000007010: D1C800E2 02052138
	v_add3_u32 v226, v56, v226, v229                           // 000000007018: D1FF00E2 0797C538
	v_cndmask_b32_e64 v32, v226, v228, s[74:75]                // 000000007020: D1000020 012BC9E2
	v_lshrrev_b32_e32 v32, 16, v32                             // 000000007028: 20404090
	v_cmp_u_f32_e64 s[74:75], v57, v57                         // 00000000702C: D048004A 00027339
	v_bfe_u32 v226, v57, 16, 1                                 // 000000007034: D1C800E2 02052139
	v_add3_u32 v226, v57, v226, v229                           // 00000000703C: D1FF00E2 0797C539
	v_cndmask_b32_e64 v33, v226, v228, s[74:75]                // 000000007044: D1000021 012BC9E2
	v_and_or_b32 v166, v33, v227, v32                          // 00000000704C: D20100A6 0483C721
	v_cmp_u_f32_e64 s[74:75], v58, v58                         // 000000007054: D048004A 0002753A
	v_bfe_u32 v226, v58, 16, 1                                 // 00000000705C: D1C800E2 0205213A
	v_add3_u32 v226, v58, v226, v229                           // 000000007064: D1FF00E2 0797C53A
	v_cndmask_b32_e64 v32, v226, v228, s[74:75]                // 00000000706C: D1000020 012BC9E2
	v_lshrrev_b32_e32 v32, 16, v32                             // 000000007074: 20404090
	v_cmp_u_f32_e64 s[74:75], v59, v59                         // 000000007078: D048004A 0002773B
	v_bfe_u32 v226, v59, 16, 1                                 // 000000007080: D1C800E2 0205213B
	v_add3_u32 v226, v59, v226, v229                           // 000000007088: D1FF00E2 0797C53B
	v_cndmask_b32_e64 v33, v226, v228, s[74:75]                // 000000007090: D1000021 012BC9E2
	v_and_or_b32 v167, v33, v227, v32                          // 000000007098: D20100A7 0483C721
	v_cmp_u_f32_e64 s[74:75], v60, v60                         // 0000000070A0: D048004A 0002793C
	v_bfe_u32 v226, v60, 16, 1                                 // 0000000070A8: D1C800E2 0205213C
	v_add3_u32 v226, v60, v226, v229                           // 0000000070B0: D1FF00E2 0797C53C
	v_cndmask_b32_e64 v32, v226, v228, s[74:75]                // 0000000070B8: D1000020 012BC9E2
	v_lshrrev_b32_e32 v32, 16, v32                             // 0000000070C0: 20404090
	v_cmp_u_f32_e64 s[74:75], v61, v61                         // 0000000070C4: D048004A 00027B3D
	v_bfe_u32 v226, v61, 16, 1                                 // 0000000070CC: D1C800E2 0205213D
	v_add3_u32 v226, v61, v226, v229                           // 0000000070D4: D1FF00E2 0797C53D
	v_cndmask_b32_e64 v33, v226, v228, s[74:75]                // 0000000070DC: D1000021 012BC9E2
	v_and_or_b32 v168, v33, v227, v32                          // 0000000070E4: D20100A8 0483C721
	v_cmp_u_f32_e64 s[74:75], v62, v62                         // 0000000070EC: D048004A 00027D3E
	v_bfe_u32 v226, v62, 16, 1                                 // 0000000070F4: D1C800E2 0205213E
	v_add3_u32 v226, v62, v226, v229                           // 0000000070FC: D1FF00E2 0797C53E
	v_cndmask_b32_e64 v32, v226, v228, s[74:75]                // 000000007104: D1000020 012BC9E2
	v_lshrrev_b32_e32 v32, 16, v32                             // 00000000710C: 20404090
	v_cmp_u_f32_e64 s[74:75], v63, v63                         // 000000007110: D048004A 00027F3F
	v_bfe_u32 v226, v63, 16, 1                                 // 000000007118: D1C800E2 0205213F
	v_add3_u32 v226, v63, v226, v229                           // 000000007120: D1FF00E2 0797C53F
	v_cndmask_b32_e64 v33, v226, v228, s[74:75]                // 000000007128: D1000021 012BC9E2
	v_and_or_b32 v169, v33, v227, v32                          // 000000007130: D20100A9 0483C721
	v_mfma_f32_16x16x16_bf16 v[96:99], v[118:119], a[90:91], v[96:99]// 000000007138: D3E10060 1582B576
	v_cmp_u_f32_e64 s[74:75], v64, v64                         // 000000007140: D048004A 00028140
	v_bfe_u32 v226, v64, 16, 1                                 // 000000007148: D1C800E2 02052140
	v_add3_u32 v226, v64, v226, v229                           // 000000007150: D1FF00E2 0797C540
	v_cndmask_b32_e64 v32, v226, v228, s[74:75]                // 000000007158: D1000020 012BC9E2
	v_lshrrev_b32_e32 v32, 16, v32                             // 000000007160: 20404090
	v_cmp_u_f32_e64 s[74:75], v65, v65                         // 000000007164: D048004A 00028341
	v_bfe_u32 v226, v65, 16, 1                                 // 00000000716C: D1C800E2 02052141
	v_add3_u32 v226, v65, v226, v229                           // 000000007174: D1FF00E2 0797C541
	v_cndmask_b32_e64 v33, v226, v228, s[74:75]                // 00000000717C: D1000021 012BC9E2
	v_and_or_b32 v170, v33, v227, v32                          // 000000007184: D20100AA 0483C721
	v_cmp_u_f32_e64 s[74:75], v66, v66                         // 00000000718C: D048004A 00028542
	v_bfe_u32 v226, v66, 16, 1                                 // 000000007194: D1C800E2 02052142
	v_add3_u32 v226, v66, v226, v229                           // 00000000719C: D1FF00E2 0797C542
	v_cndmask_b32_e64 v32, v226, v228, s[74:75]                // 0000000071A4: D1000020 012BC9E2
	v_lshrrev_b32_e32 v32, 16, v32                             // 0000000071AC: 20404090
	v_cmp_u_f32_e64 s[74:75], v67, v67                         // 0000000071B0: D048004A 00028743
	v_bfe_u32 v226, v67, 16, 1                                 // 0000000071B8: D1C800E2 02052143
	v_add3_u32 v226, v67, v226, v229                           // 0000000071C0: D1FF00E2 0797C543
	v_cndmask_b32_e64 v33, v226, v228, s[74:75]                // 0000000071C8: D1000021 012BC9E2
	v_and_or_b32 v171, v33, v227, v32                          // 0000000071D0: D20100AB 0483C721
	v_cmp_u_f32_e64 s[74:75], v68, v68                         // 0000000071D8: D048004A 00028944
	v_bfe_u32 v226, v68, 16, 1                                 // 0000000071E0: D1C800E2 02052144
	v_add3_u32 v226, v68, v226, v229                           // 0000000071E8: D1FF00E2 0797C544
	v_cndmask_b32_e64 v32, v226, v228, s[74:75]                // 0000000071F0: D1000020 012BC9E2
	v_lshrrev_b32_e32 v32, 16, v32                             // 0000000071F8: 20404090
	v_cmp_u_f32_e64 s[74:75], v69, v69                         // 0000000071FC: D048004A 00028B45
	v_bfe_u32 v226, v69, 16, 1                                 // 000000007204: D1C800E2 02052145
	v_add3_u32 v226, v69, v226, v229                           // 00000000720C: D1FF00E2 0797C545
	v_cndmask_b32_e64 v33, v226, v228, s[74:75]                // 000000007214: D1000021 012BC9E2
	v_and_or_b32 v172, v33, v227, v32                          // 00000000721C: D20100AC 0483C721
	v_cmp_u_f32_e64 s[74:75], v70, v70                         // 000000007224: D048004A 00028D46
	v_bfe_u32 v226, v70, 16, 1                                 // 00000000722C: D1C800E2 02052146
	v_add3_u32 v226, v70, v226, v229                           // 000000007234: D1FF00E2 0797C546
	v_cndmask_b32_e64 v32, v226, v228, s[74:75]                // 00000000723C: D1000020 012BC9E2
	v_lshrrev_b32_e32 v32, 16, v32                             // 000000007244: 20404090
	v_cmp_u_f32_e64 s[74:75], v71, v71                         // 000000007248: D048004A 00028F47
	v_bfe_u32 v226, v71, 16, 1                                 // 000000007250: D1C800E2 02052147
	v_add3_u32 v226, v71, v226, v229                           // 000000007258: D1FF00E2 0797C547
	v_cndmask_b32_e64 v33, v226, v228, s[74:75]                // 000000007260: D1000021 012BC9E2
	v_and_or_b32 v173, v33, v227, v32                          // 000000007268: D20100AD 0483C721
	v_cmp_u_f32_e64 s[74:75], v72, v72                         // 000000007270: D048004A 00029148
	v_bfe_u32 v226, v72, 16, 1                                 // 000000007278: D1C800E2 02052148
	v_add3_u32 v226, v72, v226, v229                           // 000000007280: D1FF00E2 0797C548
	v_cndmask_b32_e64 v32, v226, v228, s[74:75]                // 000000007288: D1000020 012BC9E2
	v_lshrrev_b32_e32 v32, 16, v32                             // 000000007290: 20404090
	v_cmp_u_f32_e64 s[74:75], v73, v73                         // 000000007294: D048004A 00029349
	v_bfe_u32 v226, v73, 16, 1                                 // 00000000729C: D1C800E2 02052149
	v_add3_u32 v226, v73, v226, v229                           // 0000000072A4: D1FF00E2 0797C549
	v_cndmask_b32_e64 v33, v226, v228, s[74:75]                // 0000000072AC: D1000021 012BC9E2
	v_and_or_b32 v174, v33, v227, v32                          // 0000000072B4: D20100AE 0483C721
	v_cmp_u_f32_e64 s[74:75], v74, v74                         // 0000000072BC: D048004A 0002954A
	v_bfe_u32 v226, v74, 16, 1                                 // 0000000072C4: D1C800E2 0205214A
	v_add3_u32 v226, v74, v226, v229                           // 0000000072CC: D1FF00E2 0797C54A
	v_cndmask_b32_e64 v32, v226, v228, s[74:75]                // 0000000072D4: D1000020 012BC9E2
	v_lshrrev_b32_e32 v32, 16, v32                             // 0000000072DC: 20404090
	v_cmp_u_f32_e64 s[74:75], v75, v75                         // 0000000072E0: D048004A 0002974B
	v_bfe_u32 v226, v75, 16, 1                                 // 0000000072E8: D1C800E2 0205214B
	v_add3_u32 v226, v75, v226, v229                           // 0000000072F0: D1FF00E2 0797C54B
	v_cndmask_b32_e64 v33, v226, v228, s[74:75]                // 0000000072F8: D1000021 012BC9E2
	v_and_or_b32 v175, v33, v227, v32                          // 000000007300: D20100AF 0483C721
	v_mfma_f32_16x16x16_bf16 v[96:99], v[120:121], a[92:93], v[96:99]// 000000007308: D3E10060 1582B978
	v_add_u32_e32 v6, s66, v6                                  // 000000007310: 680C0C42
	v_add_u32_e32 v7, s66, v7                                  // 000000007314: 680E0E42
	v_add_u32_e32 v8, s66, v8                                  // 000000007318: 68101042
	v_add_u32_e32 v9, s66, v9                                  // 00000000731C: 68121242
	v_mfma_f32_16x16x16_bf16 v[96:99], v[122:123], a[94:95], v[96:99]// 000000007320: D3E10060 1582BD7A
	s_waitcnt lgkmcnt(0)                                       // 000000007328: BF8CC07F
	s_barrier                                                  // 00000000732C: BF8A0000
	v_mfma_f32_16x16x16_bf16 v[178:181], v[124:125], v[164:165], v[178:181]// 000000007330: D3E100B2 06CB497C
	v_subrev_f32_dpp v76, v176, v76 quad_perm:[0,0,0,0] row_mask:0xf bank_mask:0xf// 000000007338: 069898FA FF0000B0
	v_subrev_f32_dpp v77, v176, v77 quad_perm:[1,1,1,1] row_mask:0xf bank_mask:0xf// 000000007340: 069A9AFA FF0055B0
	v_subrev_f32_dpp v78, v176, v78 quad_perm:[2,2,2,2] row_mask:0xf bank_mask:0xf// 000000007348: 069C9CFA FF00AAB0
	v_subrev_f32_dpp v79, v176, v79 quad_perm:[3,3,3,3] row_mask:0xf bank_mask:0xf// 000000007350: 069E9EFA FF00FFB0
	v_subrev_f32_dpp v80, v176, v80 quad_perm:[0,0,0,0] row_mask:0xf bank_mask:0xf// 000000007358: 06A0A0FA FF0000B0
	v_subrev_f32_dpp v81, v176, v81 quad_perm:[1,1,1,1] row_mask:0xf bank_mask:0xf// 000000007360: 06A2A2FA FF0055B0
	v_mfma_f32_16x16x16_bf16 v[182:185], v[126:127], v[164:165], v[182:185]// 000000007368: D3E100B6 06DB497E
	v_subrev_f32_dpp v82, v176, v82 quad_perm:[2,2,2,2] row_mask:0xf bank_mask:0xf// 000000007370: 06A4A4FA FF00AAB0
	v_subrev_f32_dpp v83, v176, v83 quad_perm:[3,3,3,3] row_mask:0xf bank_mask:0xf// 000000007378: 06A6A6FA FF00FFB0
	v_subrev_f32_dpp v84, v176, v84 quad_perm:[0,0,0,0] row_mask:0xf bank_mask:0xf// 000000007380: 06A8A8FA FF0000B0
	v_subrev_f32_dpp v85, v176, v85 quad_perm:[1,1,1,1] row_mask:0xf bank_mask:0xf// 000000007388: 06AAAAFA FF0055B0
	v_subrev_f32_dpp v86, v176, v86 quad_perm:[2,2,2,2] row_mask:0xf bank_mask:0xf// 000000007390: 06ACACFA FF00AAB0
	v_subrev_f32_dpp v87, v176, v87 quad_perm:[3,3,3,3] row_mask:0xf bank_mask:0xf// 000000007398: 06AEAEFA FF00FFB0
	v_mfma_f32_16x16x16_bf16 v[186:189], v[128:129], v[164:165], v[186:189]// 0000000073A0: D3E100BA 06EB4980
	v_mul_f32_e32 v76, v52, v76                                // 0000000073A8: 0A989934
	v_mul_f32_e32 v77, v53, v77                                // 0000000073AC: 0A9A9B35
	v_mul_f32_e32 v78, v54, v78                                // 0000000073B0: 0A9C9D36
	v_mul_f32_e32 v79, v55, v79                                // 0000000073B4: 0A9E9F37
	v_mul_f32_e32 v80, v56, v80                                // 0000000073B8: 0AA0A138
	v_mul_f32_e32 v81, v57, v81                                // 0000000073BC: 0AA2A339
	v_mfma_f32_16x16x16_bf16 v[190:193], v[130:131], v[164:165], v[190:193]// 0000000073C0: D3E100BE 06FB4982
	v_mul_f32_e32 v82, v58, v82                                // 0000000073C8: 0AA4A53A
	v_mul_f32_e32 v83, v59, v83                                // 0000000073CC: 0AA6A73B
	v_mul_f32_e32 v84, v60, v84                                // 0000000073D0: 0AA8A93C
	v_mul_f32_e32 v85, v61, v85                                // 0000000073D4: 0AAAAB3D
	v_mul_f32_e32 v86, v62, v86                                // 0000000073D8: 0AACAD3E
	v_mul_f32_e32 v87, v63, v87                                // 0000000073DC: 0AAEAF3F
	v_mfma_f32_16x16x16_bf16 v[194:197], v[124:125], v[166:167], v[194:197]// 0000000073E0: D3E100C2 070B4D7C
	v_cmp_u_f32_e64 s[74:75], v76, v76                         // 0000000073E8: D048004A 0002994C
	v_bfe_u32 v226, v76, 16, 1                                 // 0000000073F0: D1C800E2 0205214C
	v_add3_u32 v226, v76, v226, v229                           // 0000000073F8: D1FF00E2 0797C54C
	v_cndmask_b32_e64 v32, v226, v228, s[74:75]                // 000000007400: D1000020 012BC9E2
	v_lshrrev_b32_e32 v32, 16, v32                             // 000000007408: 20404090
	v_cmp_u_f32_e64 s[74:75], v77, v77                         // 00000000740C: D048004A 00029B4D
	v_bfe_u32 v226, v77, 16, 1                                 // 000000007414: D1C800E2 0205214D
	v_add3_u32 v226, v77, v226, v229                           // 00000000741C: D1FF00E2 0797C54D
	v_cndmask_b32_e64 v33, v226, v228, s[74:75]                // 000000007424: D1000021 012BC9E2
	v_and_or_b32 v76, v33, v227, v32                           // 00000000742C: D201004C 0483C721
	v_cmp_u_f32_e64 s[74:75], v78, v78                         // 000000007434: D048004A 00029D4E
	v_bfe_u32 v226, v78, 16, 1                                 // 00000000743C: D1C800E2 0205214E
	v_add3_u32 v226, v78, v226, v229                           // 000000007444: D1FF00E2 0797C54E
	v_cndmask_b32_e64 v32, v226, v228, s[74:75]                // 00000000744C: D1000020 012BC9E2
	v_lshrrev_b32_e32 v32, 16, v32                             // 000000007454: 20404090
	v_cmp_u_f32_e64 s[74:75], v79, v79                         // 000000007458: D048004A 00029F4F
	v_bfe_u32 v226, v79, 16, 1                                 // 000000007460: D1C800E2 0205214F
	v_add3_u32 v226, v79, v226, v229                           // 000000007468: D1FF00E2 0797C54F
	v_cndmask_b32_e64 v33, v226, v228, s[74:75]                // 000000007470: D1000021 012BC9E2
	v_and_or_b32 v77, v33, v227, v32                           // 000000007478: D201004D 0483C721
	v_cmp_u_f32_e64 s[74:75], v80, v80                         // 000000007480: D048004A 0002A150
	v_bfe_u32 v226, v80, 16, 1                                 // 000000007488: D1C800E2 02052150
	v_add3_u32 v226, v80, v226, v229                           // 000000007490: D1FF00E2 0797C550
	v_cndmask_b32_e64 v32, v226, v228, s[74:75]                // 000000007498: D1000020 012BC9E2
	v_lshrrev_b32_e32 v32, 16, v32                             // 0000000074A0: 20404090
	v_cmp_u_f32_e64 s[74:75], v81, v81                         // 0000000074A4: D048004A 0002A351
	v_bfe_u32 v226, v81, 16, 1                                 // 0000000074AC: D1C800E2 02052151
	v_add3_u32 v226, v81, v226, v229                           // 0000000074B4: D1FF00E2 0797C551
	v_cndmask_b32_e64 v33, v226, v228, s[74:75]                // 0000000074BC: D1000021 012BC9E2
	v_and_or_b32 v78, v33, v227, v32                           // 0000000074C4: D201004E 0483C721
	v_cmp_u_f32_e64 s[74:75], v82, v82                         // 0000000074CC: D048004A 0002A552
	v_bfe_u32 v226, v82, 16, 1                                 // 0000000074D4: D1C800E2 02052152
	v_add3_u32 v226, v82, v226, v229                           // 0000000074DC: D1FF00E2 0797C552
	v_cndmask_b32_e64 v32, v226, v228, s[74:75]                // 0000000074E4: D1000020 012BC9E2
	v_lshrrev_b32_e32 v32, 16, v32                             // 0000000074EC: 20404090
	v_cmp_u_f32_e64 s[74:75], v83, v83                         // 0000000074F0: D048004A 0002A753
	v_bfe_u32 v226, v83, 16, 1                                 // 0000000074F8: D1C800E2 02052153
	v_add3_u32 v226, v83, v226, v229                           // 000000007500: D1FF00E2 0797C553
	v_cndmask_b32_e64 v33, v226, v228, s[74:75]                // 000000007508: D1000021 012BC9E2
	v_and_or_b32 v79, v33, v227, v32                           // 000000007510: D201004F 0483C721
	v_cmp_u_f32_e64 s[74:75], v84, v84                         // 000000007518: D048004A 0002A954
	v_bfe_u32 v226, v84, 16, 1                                 // 000000007520: D1C800E2 02052154
	v_add3_u32 v226, v84, v226, v229                           // 000000007528: D1FF00E2 0797C554
	v_cndmask_b32_e64 v32, v226, v228, s[74:75]                // 000000007530: D1000020 012BC9E2
	v_lshrrev_b32_e32 v32, 16, v32                             // 000000007538: 20404090
	v_cmp_u_f32_e64 s[74:75], v85, v85                         // 00000000753C: D048004A 0002AB55
	v_bfe_u32 v226, v85, 16, 1                                 // 000000007544: D1C800E2 02052155
	v_add3_u32 v226, v85, v226, v229                           // 00000000754C: D1FF00E2 0797C555
	v_cndmask_b32_e64 v33, v226, v228, s[74:75]                // 000000007554: D1000021 012BC9E2
	v_and_or_b32 v80, v33, v227, v32                           // 00000000755C: D2010050 0483C721
	v_cmp_u_f32_e64 s[74:75], v86, v86                         // 000000007564: D048004A 0002AD56
	v_bfe_u32 v226, v86, 16, 1                                 // 00000000756C: D1C800E2 02052156
	v_add3_u32 v226, v86, v226, v229                           // 000000007574: D1FF00E2 0797C556
	v_cndmask_b32_e64 v32, v226, v228, s[74:75]                // 00000000757C: D1000020 012BC9E2
	v_lshrrev_b32_e32 v32, 16, v32                             // 000000007584: 20404090
	v_cmp_u_f32_e64 s[74:75], v87, v87                         // 000000007588: D048004A 0002AF57
	v_bfe_u32 v226, v87, 16, 1                                 // 000000007590: D1C800E2 02052157
	v_add3_u32 v226, v87, v226, v229                           // 000000007598: D1FF00E2 0797C557
	v_cndmask_b32_e64 v33, v226, v228, s[74:75]                // 0000000075A0: D1000021 012BC9E2
	v_and_or_b32 v81, v33, v227, v32                           // 0000000075A8: D2010051 0483C721
	v_mfma_f32_16x16x16_bf16 v[198:201], v[126:127], v[166:167], v[198:201]// 0000000075B0: D3E100C6 071B4D7E
	v_mov_b32_dpp v18, v76 quad_perm:[1,0,3,2] row_mask:0xf bank_mask:0xf// 0000000075B8: 7E2402FA FF00B14C
	v_perm_b32 v52, v18, v76, v17                              // 0000000075C0: D1ED0034 04469912
	v_mov_b32_dpp v18, v77 quad_perm:[1,0,3,2] row_mask:0xf bank_mask:0xf// 0000000075C8: 7E2402FA FF00B14D
	v_perm_b32 v53, v18, v77, v17                              // 0000000075D0: D1ED0035 04469B12
	v_mov_b32_dpp v18, v78 quad_perm:[1,0,3,2] row_mask:0xf bank_mask:0xf// 0000000075D8: 7E2402FA FF00B14E
	v_perm_b32 v54, v18, v78, v17                              // 0000000075E0: D1ED0036 04469D12
	v_mfma_f32_16x16x16_bf16 v[202:205], v[128:129], v[166:167], v[202:205]// 0000000075E8: D3E100CA 072B4D80
	v_mov_b32_dpp v18, v79 quad_perm:[1,0,3,2] row_mask:0xf bank_mask:0xf// 0000000075F0: 7E2402FA FF00B14F
	v_perm_b32 v55, v18, v79, v17                              // 0000000075F8: D1ED0037 04469F12
	v_mov_b32_dpp v18, v80 quad_perm:[1,0,3,2] row_mask:0xf bank_mask:0xf// 000000007600: 7E2402FA FF00B150
	v_perm_b32 v56, v18, v80, v17                              // 000000007608: D1ED0038 0446A112
	v_mov_b32_dpp v18, v81 quad_perm:[1,0,3,2] row_mask:0xf bank_mask:0xf// 000000007610: 7E2402FA FF00B151
	v_perm_b32 v57, v18, v81, v17                              // 000000007618: D1ED0039 0446A312
	v_mfma_f32_16x16x16_bf16 v[206:209], v[130:131], v[166:167], v[206:209]// 000000007620: D3E100CE 073B4D82
	ds_write_b32 v20, v52 offset:17408                         // 000000007628: D81A4400 00003414
	ds_write_b32 v20, v53 offset:17952                         // 000000007630: D81A4620 00003514
	v_mfma_f32_16x16x16_bf16 v[210:213], v[124:125], v[168:169], v[210:213]// 000000007638: D3E100D2 074B517C
	v_subrev_f32_dpp v88, v177, v88 quad_perm:[0,0,0,0] row_mask:0xf bank_mask:0xf// 000000007640: 06B0B0FA FF0000B1
	v_subrev_f32_dpp v89, v177, v89 quad_perm:[1,1,1,1] row_mask:0xf bank_mask:0xf// 000000007648: 06B2B2FA FF0055B1
	v_subrev_f32_dpp v90, v177, v90 quad_perm:[2,2,2,2] row_mask:0xf bank_mask:0xf// 000000007650: 06B4B4FA FF00AAB1
	v_subrev_f32_dpp v91, v177, v91 quad_perm:[3,3,3,3] row_mask:0xf bank_mask:0xf// 000000007658: 06B6B6FA FF00FFB1
	v_subrev_f32_dpp v92, v177, v92 quad_perm:[0,0,0,0] row_mask:0xf bank_mask:0xf// 000000007660: 06B8B8FA FF0000B1
	v_subrev_f32_dpp v93, v177, v93 quad_perm:[1,1,1,1] row_mask:0xf bank_mask:0xf// 000000007668: 06BABAFA FF0055B1
	v_mfma_f32_16x16x16_bf16 v[214:217], v[126:127], v[168:169], v[214:217]// 000000007670: D3E100D6 075B517E
	ds_write_b32 v20, v54 offset:19712                         // 000000007678: D81A4D00 00003614
	ds_write_b32 v20, v55 offset:20256                         // 000000007680: D81A4F20 00003714
	v_mfma_f32_16x16x16_bf16 v[218:221], v[128:129], v[168:169], v[218:221]// 000000007688: D3E100DA 076B5180
	v_subrev_f32_dpp v94, v177, v94 quad_perm:[2,2,2,2] row_mask:0xf bank_mask:0xf// 000000007690: 06BCBCFA FF00AAB1
	v_subrev_f32_dpp v95, v177, v95 quad_perm:[3,3,3,3] row_mask:0xf bank_mask:0xf// 000000007698: 06BEBEFA FF00FFB1
	v_subrev_f32_dpp v96, v177, v96 quad_perm:[0,0,0,0] row_mask:0xf bank_mask:0xf// 0000000076A0: 06C0C0FA FF0000B1
	v_subrev_f32_dpp v97, v177, v97 quad_perm:[1,1,1,1] row_mask:0xf bank_mask:0xf// 0000000076A8: 06C2C2FA FF0055B1
	v_subrev_f32_dpp v98, v177, v98 quad_perm:[2,2,2,2] row_mask:0xf bank_mask:0xf// 0000000076B0: 06C4C4FA FF00AAB1
	v_subrev_f32_dpp v99, v177, v99 quad_perm:[3,3,3,3] row_mask:0xf bank_mask:0xf// 0000000076B8: 06C6C6FA FF00FFB1
	v_mfma_f32_16x16x16_bf16 v[222:225], v[130:131], v[168:169], v[222:225]// 0000000076C0: D3E100DE 077B5182
	ds_write_b32 v20, v56 offset:22016                         // 0000000076C8: D81A5600 00003814
	ds_write_b32 v20, v57 offset:22560                         // 0000000076D0: D81A5820 00003914
	v_mfma_f32_16x16x16_bf16 v[178:181], v[132:133], v[170:171], v[178:181]// 0000000076D8: D3E100B2 06CB5584
	v_mul_f32_e32 v88, v64, v88                                // 0000000076E0: 0AB0B140
	v_mul_f32_e32 v89, v65, v89                                // 0000000076E4: 0AB2B341
	v_mul_f32_e32 v90, v66, v90                                // 0000000076E8: 0AB4B542
	v_mul_f32_e32 v91, v67, v91                                // 0000000076EC: 0AB6B743
	v_mul_f32_e32 v92, v68, v92                                // 0000000076F0: 0AB8B944
	v_mul_f32_e32 v93, v69, v93                                // 0000000076F4: 0ABABB45
	v_mfma_f32_16x16x16_bf16 v[182:185], v[134:135], v[170:171], v[182:185]// 0000000076F8: D3E100B6 06DB5586
	v_mul_f32_e32 v94, v70, v94                                // 000000007700: 0ABCBD46
	v_mul_f32_e32 v95, v71, v95                                // 000000007704: 0ABEBF47
	v_mul_f32_e32 v96, v72, v96                                // 000000007708: 0AC0C148
	v_mul_f32_e32 v97, v73, v97                                // 00000000770C: 0AC2C349
	v_mul_f32_e32 v98, v74, v98                                // 000000007710: 0AC4C54A
	v_mul_f32_e32 v99, v75, v99                                // 000000007714: 0AC6C74B
	v_mfma_f32_16x16x16_bf16 v[186:189], v[136:137], v[170:171], v[186:189]// 000000007718: D3E100BA 06EB5588
	v_cmp_u_f32_e64 s[74:75], v88, v88                         // 000000007720: D048004A 0002B158
	v_bfe_u32 v226, v88, 16, 1                                 // 000000007728: D1C800E2 02052158
	v_add3_u32 v226, v88, v226, v229                           // 000000007730: D1FF00E2 0797C558
	v_cndmask_b32_e64 v32, v226, v228, s[74:75]                // 000000007738: D1000020 012BC9E2
	v_lshrrev_b32_e32 v32, 16, v32                             // 000000007740: 20404090
	v_cmp_u_f32_e64 s[74:75], v89, v89                         // 000000007744: D048004A 0002B359
	v_bfe_u32 v226, v89, 16, 1                                 // 00000000774C: D1C800E2 02052159
	v_add3_u32 v226, v89, v226, v229                           // 000000007754: D1FF00E2 0797C559
	v_cndmask_b32_e64 v33, v226, v228, s[74:75]                // 00000000775C: D1000021 012BC9E2
	v_and_or_b32 v82, v33, v227, v32                           // 000000007764: D2010052 0483C721
	v_cmp_u_f32_e64 s[74:75], v90, v90                         // 00000000776C: D048004A 0002B55A
	v_bfe_u32 v226, v90, 16, 1                                 // 000000007774: D1C800E2 0205215A
	v_add3_u32 v226, v90, v226, v229                           // 00000000777C: D1FF00E2 0797C55A
	v_cndmask_b32_e64 v32, v226, v228, s[74:75]                // 000000007784: D1000020 012BC9E2
	v_lshrrev_b32_e32 v32, 16, v32                             // 00000000778C: 20404090
	v_cmp_u_f32_e64 s[74:75], v91, v91                         // 000000007790: D048004A 0002B75B
	v_bfe_u32 v226, v91, 16, 1                                 // 000000007798: D1C800E2 0205215B
	v_add3_u32 v226, v91, v226, v229                           // 0000000077A0: D1FF00E2 0797C55B
	v_cndmask_b32_e64 v33, v226, v228, s[74:75]                // 0000000077A8: D1000021 012BC9E2
	v_and_or_b32 v83, v33, v227, v32                           // 0000000077B0: D2010053 0483C721
	v_cmp_u_f32_e64 s[74:75], v92, v92                         // 0000000077B8: D048004A 0002B95C
	v_bfe_u32 v226, v92, 16, 1                                 // 0000000077C0: D1C800E2 0205215C
	v_add3_u32 v226, v92, v226, v229                           // 0000000077C8: D1FF00E2 0797C55C
	v_cndmask_b32_e64 v32, v226, v228, s[74:75]                // 0000000077D0: D1000020 012BC9E2
	v_lshrrev_b32_e32 v32, 16, v32                             // 0000000077D8: 20404090
	v_cmp_u_f32_e64 s[74:75], v93, v93                         // 0000000077DC: D048004A 0002BB5D
	v_bfe_u32 v226, v93, 16, 1                                 // 0000000077E4: D1C800E2 0205215D
	v_add3_u32 v226, v93, v226, v229                           // 0000000077EC: D1FF00E2 0797C55D
	v_cndmask_b32_e64 v33, v226, v228, s[74:75]                // 0000000077F4: D1000021 012BC9E2
	v_and_or_b32 v84, v33, v227, v32                           // 0000000077FC: D2010054 0483C721
	v_cmp_u_f32_e64 s[74:75], v94, v94                         // 000000007804: D048004A 0002BD5E
	v_bfe_u32 v226, v94, 16, 1                                 // 00000000780C: D1C800E2 0205215E
	v_add3_u32 v226, v94, v226, v229                           // 000000007814: D1FF00E2 0797C55E
	v_cndmask_b32_e64 v32, v226, v228, s[74:75]                // 00000000781C: D1000020 012BC9E2
	v_lshrrev_b32_e32 v32, 16, v32                             // 000000007824: 20404090
	v_cmp_u_f32_e64 s[74:75], v95, v95                         // 000000007828: D048004A 0002BF5F
	v_bfe_u32 v226, v95, 16, 1                                 // 000000007830: D1C800E2 0205215F
	v_add3_u32 v226, v95, v226, v229                           // 000000007838: D1FF00E2 0797C55F
	v_cndmask_b32_e64 v33, v226, v228, s[74:75]                // 000000007840: D1000021 012BC9E2
	v_and_or_b32 v85, v33, v227, v32                           // 000000007848: D2010055 0483C721
	v_cmp_u_f32_e64 s[74:75], v96, v96                         // 000000007850: D048004A 0002C160
	v_bfe_u32 v226, v96, 16, 1                                 // 000000007858: D1C800E2 02052160
	v_add3_u32 v226, v96, v226, v229                           // 000000007860: D1FF00E2 0797C560
	v_cndmask_b32_e64 v32, v226, v228, s[74:75]                // 000000007868: D1000020 012BC9E2
	v_lshrrev_b32_e32 v32, 16, v32                             // 000000007870: 20404090
	v_cmp_u_f32_e64 s[74:75], v97, v97                         // 000000007874: D048004A 0002C361
	v_bfe_u32 v226, v97, 16, 1                                 // 00000000787C: D1C800E2 02052161
	v_add3_u32 v226, v97, v226, v229                           // 000000007884: D1FF00E2 0797C561
	v_cndmask_b32_e64 v33, v226, v228, s[74:75]                // 00000000788C: D1000021 012BC9E2
	v_and_or_b32 v86, v33, v227, v32                           // 000000007894: D2010056 0483C721
	v_cmp_u_f32_e64 s[74:75], v98, v98                         // 00000000789C: D048004A 0002C562
	v_bfe_u32 v226, v98, 16, 1                                 // 0000000078A4: D1C800E2 02052162
	v_add3_u32 v226, v98, v226, v229                           // 0000000078AC: D1FF00E2 0797C562
	v_cndmask_b32_e64 v32, v226, v228, s[74:75]                // 0000000078B4: D1000020 012BC9E2
	v_lshrrev_b32_e32 v32, 16, v32                             // 0000000078BC: 20404090
	v_cmp_u_f32_e64 s[74:75], v99, v99                         // 0000000078C0: D048004A 0002C763
	v_bfe_u32 v226, v99, 16, 1                                 // 0000000078C8: D1C800E2 02052163
	v_add3_u32 v226, v99, v226, v229                           // 0000000078D0: D1FF00E2 0797C563
	v_cndmask_b32_e64 v33, v226, v228, s[74:75]                // 0000000078D8: D1000021 012BC9E2
	v_and_or_b32 v87, v33, v227, v32                           // 0000000078E0: D2010057 0483C721
	v_mfma_f32_16x16x16_bf16 v[190:193], v[138:139], v[170:171], v[190:193]// 0000000078E8: D3E100BE 06FB558A
	v_mov_b32_dpp v18, v82 quad_perm:[1,0,3,2] row_mask:0xf bank_mask:0xf// 0000000078F0: 7E2402FA FF00B152
	v_perm_b32 v58, v18, v82, v17                              // 0000000078F8: D1ED003A 0446A512
	v_mov_b32_dpp v18, v83 quad_perm:[1,0,3,2] row_mask:0xf bank_mask:0xf// 000000007900: 7E2402FA FF00B153
	v_perm_b32 v59, v18, v83, v17                              // 000000007908: D1ED003B 0446A712
	v_mov_b32_dpp v18, v84 quad_perm:[1,0,3,2] row_mask:0xf bank_mask:0xf// 000000007910: 7E2402FA FF00B154
	v_perm_b32 v60, v18, v84, v17                              // 000000007918: D1ED003C 0446A912
	v_mfma_f32_16x16x16_bf16 v[194:197], v[132:133], v[172:173], v[194:197]// 000000007920: D3E100C2 070B5984
	v_mov_b32_dpp v18, v85 quad_perm:[1,0,3,2] row_mask:0xf bank_mask:0xf// 000000007928: 7E2402FA FF00B155
	v_perm_b32 v61, v18, v85, v17                              // 000000007930: D1ED003D 0446AB12
	v_mov_b32_dpp v18, v86 quad_perm:[1,0,3,2] row_mask:0xf bank_mask:0xf// 000000007938: 7E2402FA FF00B156
	v_perm_b32 v62, v18, v86, v17                              // 000000007940: D1ED003E 0446AD12
	v_mov_b32_dpp v18, v87 quad_perm:[1,0,3,2] row_mask:0xf bank_mask:0xf// 000000007948: 7E2402FA FF00B157
	v_perm_b32 v63, v18, v87, v17                              // 000000007950: D1ED003F 0446AF12
	v_mfma_f32_16x16x16_bf16 v[198:201], v[134:135], v[172:173], v[198:201]// 000000007958: D3E100C6 071B5986
	ds_write_b32 v20, v58 offset:24320                         // 000000007960: D81A5F00 00003A14
	ds_write_b32 v20, v59 offset:24864                         // 000000007968: D81A6120 00003B14
	v_mfma_f32_16x16x16_bf16 v[202:205], v[136:137], v[172:173], v[202:205]// 000000007970: D3E100CA 072B5988
	v_mfma_f32_16x16x16_bf16 v[206:209], v[138:139], v[172:173], v[206:209]// 000000007978: D3E100CE 073B598A
	ds_write_b32 v20, v60 offset:26624                         // 000000007980: D81A6800 00003C14
	ds_write_b32 v20, v61 offset:27168                         // 000000007988: D81A6A20 00003D14
	ds_write_b32 v20, v62 offset:28928                         // 000000007990: D81A7100 00003E14
	ds_write_b32 v20, v63 offset:29472                         // 000000007998: D81A7320 00003F14
	v_mfma_f32_16x16x16_bf16 v[210:213], v[132:133], v[174:175], v[210:213]// 0000000079A0: D3E100D2 074B5D84
	v_mfma_f32_16x16x16_bf16 v[214:217], v[134:135], v[174:175], v[214:217]// 0000000079A8: D3E100D6 075B5D86
	ds_write_b32 v15, v100 offset:4352                         // 0000000079B0: D81A1100 0000640F
	ds_write_b32 v15, v101 offset:5408                         // 0000000079B8: D81A1520 0000650F
	v_mfma_f32_16x16x16_bf16 v[218:221], v[136:137], v[174:175], v[218:221]// 0000000079C0: D3E100DA 076B5D88
	s_nop 0                                                    // 0000000079C8: BF800000
	s_nop 0                                                    // 0000000079CC: BF800000
	s_nop 0                                                    // 0000000079D0: BF800000
	v_mfma_f32_16x16x16_bf16 v[222:225], v[138:139], v[174:175], v[222:225]// 0000000079D4: D3E100DE 077B5D8A
	ds_write_b32 v15, v102 offset:6528                         // 0000000079DC: D81A1980 0000660F
	ds_write_b32 v15, v103 offset:7584                         // 0000000079E4: D81A1DA0 0000670F
	s_barrier                                                  // 0000000079EC: BF8A0000
	v_mfma_f32_16x16x16_bf16 a[112:115], a[96:97], v[76:77], a[112:115]// 0000000079F0: D3E18070 0DC29960
	buffer_atomic_add_f32 v156, v6, s[32:35], 0 idxen          // 0000000079F8: E1342000 80089C06
	v_mfma_f32_16x16x16_bf16 a[116:119], a[98:99], v[76:77], a[116:119]// 000000007A00: D3E18074 0DD29962
	ds_read_b32 v140, v23 offset:39424                         // 000000007A08: D86C9A00 8C000017
	ds_read_b32 v144, v23 offset:39488                         // 000000007A10: D86C9A40 90000017
	ds_read_b32 v176, v23 offset:39680                         // 000000007A18: D86C9B00 B0000017
	ds_read_b32 v177, v23 offset:39744                         // 000000007A20: D86C9B40 B1000017
	v_mfma_f32_16x16x16_bf16 a[120:123], a[100:101], v[76:77], a[120:123]// 000000007A28: D3E18078 0DE29964
	s_waitcnt lgkmcnt(8)                                       // 000000007A30: BF8CC87F
	s_barrier                                                  // 000000007A34: BF8A0000
	v_mfma_f32_16x16x16_bf16 a[124:127], a[102:103], v[76:77], a[124:127]// 000000007A38: D3E1807C 0DF29966
	ds_read_b128 v[52:55], v19 offset:17408                    // 000000007A40: D9FE4400 34000013
	v_mfma_f32_16x16x16_bf16 a[128:131], a[96:97], v[78:79], a[128:131]// 000000007A48: D3E18080 0E029D60
	v_mfma_f32_16x16x16_bf16 a[132:135], a[98:99], v[78:79], a[132:135]// 000000007A50: D3E18084 0E129D62
	ds_read_b128 v[56:59], v19 offset:18560                    // 000000007A58: D9FE4880 38000013
	v_mfma_f32_16x16x16_bf16 a[136:139], a[100:101], v[78:79], a[136:139]// 000000007A60: D3E18088 0E229D64
	buffer_atomic_add_f32 v157, v7, s[32:35], 0 idxen          // 000000007A68: E1342000 80089D07
	v_mfma_f32_16x16x16_bf16 a[140:143], a[102:103], v[78:79], a[140:143]// 000000007A70: D3E1808C 0E329D66
	ds_read_b128 v[60:63], v19 offset:19712                    // 000000007A78: D9FE4D00 3C000013
	v_mfma_f32_16x16x16_bf16 a[144:147], a[96:97], v[80:81], a[144:147]// 000000007A80: D3E18090 0E42A160
	v_mfma_f32_16x16x16_bf16 a[148:151], a[98:99], v[80:81], a[148:151]// 000000007A88: D3E18094 0E52A162
	ds_read_b128 v[64:67], v19 offset:20864                    // 000000007A90: D9FE5180 40000013
	v_mfma_f32_16x16x16_bf16 a[152:155], a[100:101], v[80:81], a[152:155]// 000000007A98: D3E18098 0E62A164
	v_mfma_f32_16x16x16_bf16 a[156:159], a[102:103], v[80:81], a[156:159]// 000000007AA0: D3E1809C 0E72A166
	ds_read_b128 v[68:71], v19 offset:22016                    // 000000007AA8: D9FE5600 44000013
	v_mfma_f32_16x16x16_bf16 a[112:115], a[104:105], v[82:83], a[112:115]// 000000007AB0: D3E18070 0DC2A568
	buffer_atomic_add_f32 v158, v6, s[32:35], 0 idxen offset:128// 000000007AB8: E1342080 80089E06
	v_mfma_f32_16x16x16_bf16 a[116:119], a[106:107], v[82:83], a[116:119]// 000000007AC0: D3E18074 0DD2A56A
	ds_read_b128 v[72:75], v19 offset:23168                    // 000000007AC8: D9FE5A80 48000013
	v_mfma_f32_16x16x16_bf16 a[120:123], a[108:109], v[82:83], a[120:123]// 000000007AD0: D3E18078 0DE2A56C
	v_mfma_f32_16x16x16_bf16 a[124:127], a[110:111], v[82:83], a[124:127]// 000000007AD8: D3E1807C 0DF2A56E
	ds_write_b32 v15, v104 offset:13056                        // 000000007AE0: D81A3300 0000680F
	v_mfma_f32_16x16x16_bf16 a[128:131], a[104:105], v[84:85], a[128:131]// 000000007AE8: D3E18080 0E02A968
	v_mfma_f32_16x16x16_bf16 a[132:135], a[106:107], v[84:85], a[132:135]// 000000007AF0: D3E18084 0E12A96A
	ds_write_b32 v15, v105 offset:14112                        // 000000007AF8: D81A3720 0000690F
	v_mfma_f32_16x16x16_bf16 a[136:139], a[108:109], v[84:85], a[136:139]// 000000007B00: D3E18088 0E22A96C
	buffer_atomic_add_f32 v159, v7, s[32:35], 0 idxen offset:128// 000000007B08: E1342080 80089F07
	v_mfma_f32_16x16x16_bf16 a[140:143], a[110:111], v[84:85], a[140:143]// 000000007B10: D3E1808C 0E32A96E
	ds_write_b32 v15, v106 offset:15232                        // 000000007B18: D81A3B80 00006A0F
	v_mfma_f32_16x16x16_bf16 a[144:147], a[104:105], v[86:87], a[144:147]// 000000007B20: D3E18090 0E42AD68
	v_mfma_f32_16x16x16_bf16 a[148:151], a[106:107], v[86:87], a[148:151]// 000000007B28: D3E18094 0E52AD6A
	ds_write_b32 v15, v107 offset:16288                        // 000000007B30: D81A3FA0 00006B0F
	v_mfma_f32_16x16x16_bf16 a[152:155], a[108:109], v[86:87], a[152:155]// 000000007B38: D3E18098 0E62AD6C
	v_mfma_f32_16x16x16_bf16 a[156:159], a[110:111], v[86:87], a[156:159]// 000000007B40: D3E1809C 0E72AD6E
	s_waitcnt vmcnt(8) lgkmcnt(4)                              // 000000007B48: BF8C0478
	s_barrier                                                  // 000000007B4C: BF8A0000
	v_mfma_f32_16x16x16_bf16 v[148:151], v[52:53], a[24:25], 0 // 000000007B50: D3E10094 12023134
	v_mul_f32_e32 v140, s48, v140                              // 000000007B58: 0B191830
	v_mul_f32_e32 v144, s48, v144                              // 000000007B5C: 0B212030
	s_nop 0                                                    // 000000007B60: BF800000
	v_mfma_f32_16x16x16_bf16 v[148:151], v[54:55], a[28:29], v[148:151]// 000000007B64: D3E10094 16523936
	ds_read_b128 a[96:99], v12                                 // 000000007B6C: DBFE0000 6000000C
	buffer_load_dword v36, v1, s[8:11], 0 idxen                // 000000007B74: E0502000 80022401
	v_mfma_f32_16x16x16_bf16 v[148:151], v[56:57], a[32:33], v[148:151]// 000000007B7C: D3E10094 16524138
	v_mfma_f32_16x16x16_bf16 v[148:151], v[58:59], a[36:37], v[148:151]// 000000007B84: D3E10094 1652493A
	ds_read_b128 a[100:103], v12 offset:512                    // 000000007B8C: DBFE0200 6400000C
	buffer_load_dword v37, v2, s[8:11], 0 idxen                // 000000007B94: E0502000 80022502
	v_mfma_f32_16x16x16_bf16 v[148:151], v[60:61], a[40:41], v[148:151]// 000000007B9C: D3E10094 1652513C
	v_perm_b32 v100, v41, v40, s63                             // 000000007BA4: D1ED0064 00FE5129
	v_perm_b32 v101, v41, v40, s64                             // 000000007BAC: D1ED0065 01025129
	v_mfma_f32_16x16x16_bf16 v[148:151], v[62:63], a[44:45], v[148:151]// 000000007BB4: D3E10094 1652593E
	ds_read_b128 a[104:107], v12 offset:2176                   // 000000007BBC: DBFE0880 6800000C
	buffer_load_dword v38, v3, s[8:11], 0 idxen                // 000000007BC4: E0502000 80022603
	v_mfma_f32_16x16x16_bf16 v[148:151], v[64:65], a[48:49], v[148:151]// 000000007BCC: D3E10094 16526140
	v_perm_b32 v102, v43, v42, s63                             // 000000007BD4: D1ED0066 00FE552B
	v_perm_b32 v103, v43, v42, s64                             // 000000007BDC: D1ED0067 0102552B
	v_mfma_f32_16x16x16_bf16 v[148:151], v[66:67], a[52:53], v[148:151]// 000000007BE4: D3E10094 16526942
	ds_read_b128 a[108:111], v12 offset:2688                   // 000000007BEC: DBFE0A80 6C00000C
	buffer_load_dword v39, v4, s[8:11], 0 idxen                // 000000007BF4: E0502000 80022704
	v_mfma_f32_16x16x16_bf16 v[148:151], v[68:69], a[56:57], v[148:151]// 000000007BFC: D3E10094 16527144
	v_perm_b32 v104, v49, v48, s63                             // 000000007C04: D1ED0068 00FE6131
	v_perm_b32 v105, v49, v48, s64                             // 000000007C0C: D1ED0069 01026131
	v_mfma_f32_16x16x16_bf16 v[148:151], v[70:71], a[60:61], v[148:151]// 000000007C14: D3E10094 16527946
	ds_read_b128 v[108:111], v12 offset:8704                   // 000000007C1C: D9FE2200 6C00000C
	buffer_load_dword v44, v231, s[20:23], 0 idxen             // 000000007C24: E0502000 80052CE7
	v_mfma_f32_16x16x16_bf16 v[148:151], v[72:73], a[64:65], v[148:151]// 000000007C2C: D3E10094 16528148
	v_perm_b32 v106, v51, v50, s63                             // 000000007C34: D1ED006A 00FE6533
	v_perm_b32 v107, v51, v50, s64                             // 000000007C3C: D1ED006B 01026533
	v_mfma_f32_16x16x16_bf16 v[148:151], v[74:75], a[68:69], v[148:151]// 000000007C44: D3E10094 1652894A
	ds_read_b128 v[112:115], v12 offset:9216                   // 000000007C4C: D9FE2400 7000000C
	buffer_load_dword v45, v232, s[20:23], 0 idxen             // 000000007C54: E0502000 80052DE8
	v_mfma_f32_16x16x16_bf16 v[152:155], v[52:53], a[26:27], 0 // 000000007C5C: D3E10098 12023534
	v_mov_b32_dpp v143, v140 quad_perm:[3,3,3,3] row_mask:0xf bank_mask:0xf// 000000007C64: 7F1E02FA FF00FF8C
	v_mov_b32_dpp v142, v140 quad_perm:[2,2,2,2] row_mask:0xf bank_mask:0xf// 000000007C6C: 7F1C02FA FF00AA8C
	v_mov_b32_dpp v141, v140 quad_perm:[1,1,1,1] row_mask:0xf bank_mask:0xf// 000000007C74: 7F1A02FA FF00558C
	v_mov_b32_dpp v140, v140 quad_perm:[0,0,0,0] row_mask:0xf bank_mask:0xf// 000000007C7C: 7F1802FA FF00008C
	v_mfma_f32_16x16x16_bf16 v[152:155], v[54:55], a[30:31], v[152:155]// 000000007C84: D3E10098 16623D36
	ds_read_b128 v[116:119], v12 offset:10880                  // 000000007C8C: D9FE2A80 7400000C
	buffer_load_dword v46, v233, s[20:23], 0 idxen             // 000000007C94: E0502000 80052EE9
	v_mfma_f32_16x16x16_bf16 v[152:155], v[56:57], a[34:35], v[152:155]// 000000007C9C: D3E10098 16624538
	v_mov_b32_dpp v147, v144 quad_perm:[3,3,3,3] row_mask:0xf bank_mask:0xf// 000000007CA4: 7F2602FA FF00FF90
	v_mov_b32_dpp v146, v144 quad_perm:[2,2,2,2] row_mask:0xf bank_mask:0xf// 000000007CAC: 7F2402FA FF00AA90
	v_mov_b32_dpp v145, v144 quad_perm:[1,1,1,1] row_mask:0xf bank_mask:0xf// 000000007CB4: 7F2202FA FF005590
	v_mov_b32_dpp v144, v144 quad_perm:[0,0,0,0] row_mask:0xf bank_mask:0xf// 000000007CBC: 7F2002FA FF000090
	s_add_u32 s60, 0x80, s59                                   // 000000007CC4: 803C3BFF 00000080
	v_mfma_f32_16x16x16_bf16 v[152:155], v[58:59], a[38:39], v[152:155]// 000000007CCC: D3E10098 16624D3A
	ds_read_b128 v[120:123], v12 offset:11392                  // 000000007CD4: D9FE2C80 7800000C
	buffer_load_dword v47, v234, s[20:23], 0 idxen             // 000000007CDC: E0502000 80052FEA
	v_mfma_f32_16x16x16_bf16 v[152:155], v[60:61], a[42:43], v[152:155]// 000000007CE4: D3E10098 1662553C
	s_cmp_lt_u32 s60, s58                                      // 000000007CEC: BF0A3A3C
	s_cselect_b32 s68, s68, 0                                  // 000000007CF0: 85448044
	s_cselect_b32 s81, s81, 0                                  // 000000007CF4: 85518051
	s_cselect_b32 s69, s69, 0                                  // 000000007CF8: 85458045
	v_mfma_f32_16x16x16_bf16 v[152:155], v[62:63], a[46:47], v[152:155]// 000000007CFC: D3E10098 16625D3E
	buffer_load_dword v11, s[24:27], 0 idxen lds               // 000000007D04: E0512000 8006000B
	v_mfma_f32_16x16x16_bf16 v[152:155], v[64:65], a[50:51], v[152:155]// 000000007D0C: D3E10098 16626540
	v_add_u32_e32 v1, s68, v1                                  // 000000007D14: 68020244
	v_add_u32_e32 v2, s68, v2                                  // 000000007D18: 68040444
	v_add_u32_e32 v3, s68, v3                                  // 000000007D1C: 68060644
	v_add_u32_e32 v4, s68, v4                                  // 000000007D20: 68080844
	v_mfma_f32_16x16x16_bf16 v[152:155], v[66:67], a[54:55], v[152:155]// 000000007D24: D3E10098 16626D42
	v_add_u32_e32 v231, s81, v231                              // 000000007D2C: 69CFCE51
	v_add_u32_e32 v232, s81, v232                              // 000000007D30: 69D1D051
	v_add_u32_e32 v233, s81, v233                              // 000000007D34: 69D3D251
	v_add_u32_e32 v234, s81, v234                              // 000000007D38: 69D5D451
	v_mfma_f32_16x16x16_bf16 v[152:155], v[68:69], a[58:59], v[152:155]// 000000007D3C: D3E10098 16627544
	s_mov_b32 m0, s77                                          // 000000007D44: BEFC004D
	v_add_u32_e32 v11, s69, v11                                // 000000007D48: 68161645
	v_mfma_f32_16x16x16_bf16 v[152:155], v[70:71], a[62:63], v[152:155]// 000000007D4C: D3E10098 16627D46
	s_cmp_ge_u32 s59, 32                                       // 000000007D54: BF09A03B
	s_cselect_b32 s66, s67, s66                                // 000000007D58: 85424243
	v_mfma_f32_16x16x16_bf16 v[152:155], v[72:73], a[66:67], v[152:155]// 000000007D5C: D3E10098 16628548
	s_addk_i32 s59, 0x20                                       // 000000007D64: B73B0020
	s_nop 0                                                    // 000000007D68: BF800000
	s_cmp_lt_i32 s59, s58                                      // 000000007D6C: BF043A3B
	v_mfma_f32_16x16x16_bf16 v[152:155], v[74:75], a[70:71], v[152:155]// 000000007D70: D3E10098 16628D4A
	s_cbranch_scc0 label_0FF2                                  // 000000007D78: BF840001
	s_branch label_062D                                        // 000000007D7C: BF82F64D

0000000000007d80 <label_0FF2>:
	s_nop 0                                                    // 000000007D80: BF800000
	s_nop 0                                                    // 000000007D84: BF800000
	s_branch label_19BA                                        // 000000007D88: BF8209B3

0000000000007d8c <label_0FF5>:
	s_waitcnt lgkmcnt(4)                                       // 000000007D8C: BF8CC47F
	s_barrier                                                  // 000000007D90: BF8A0000
	v_mfma_f32_16x16x16_bf16 v[52:55], a[96:97], a[0:1], 0     // 000000007D94: D3E10034 1A020160
	v_mul_f32_e32 v148, s47, v148                              // 000000007D9C: 0B29282F
	v_mul_f32_e32 v149, s47, v149                              // 000000007DA0: 0B2B2A2F
	v_mfma_f32_16x16x16_bf16 v[52:55], a[98:99], a[2:3], v[52:55]// 000000007DA4: D3E10034 1CD20562
	ds_write_b32 v13, v48 offset:8704                          // 000000007DAC: D81A2200 0000300D
	ds_write_b32 v13, v49 offset:9760                          // 000000007DB4: D81A2620 0000310D
	v_mfma_f32_16x16x16_bf16 v[52:55], a[100:101], a[4:5], v[52:55]// 000000007DBC: D3E10034 1CD20964
	v_mul_f32_e32 v150, s47, v150                              // 000000007DC4: 0B2D2C2F
	v_mul_f32_e32 v151, s47, v151                              // 000000007DC8: 0B2F2E2F
	v_mfma_f32_16x16x16_bf16 v[52:55], a[102:103], a[6:7], v[52:55]// 000000007DCC: D3E10034 1CD20D66
	ds_write_b32 v13, v50 offset:10880                         // 000000007DD4: D81A2A80 0000320D
	ds_write_b32 v13, v51 offset:11936                         // 000000007DDC: D81A2EA0 0000330D
	v_mfma_f32_16x16x16_bf16 v[56:59], a[96:97], a[8:9], 0     // 000000007DE4: D3E10038 1A021160
	v_mul_f32_e32 v152, s47, v152                              // 000000007DEC: 0B31302F
	v_mul_f32_e32 v153, s47, v153                              // 000000007DF0: 0B33322F
	v_mfma_f32_16x16x16_bf16 v[56:59], a[98:99], a[10:11], v[56:59]// 000000007DF4: D3E10038 1CE21562
	ds_write_b64 v22, v[148:149] offset:31232                  // 000000007DFC: D89A7A00 00009416
	v_mfma_f32_16x16x16_bf16 v[56:59], a[100:101], a[12:13], v[56:59]// 000000007E04: D3E10038 1CE21964
	v_mul_f32_e32 v154, s47, v154                              // 000000007E0C: 0B35342F
	v_mul_f32_e32 v155, s47, v155                              // 000000007E10: 0B37362F
	v_mfma_f32_16x16x16_bf16 v[56:59], a[102:103], a[14:15], v[56:59]// 000000007E14: D3E10038 1CE21D66
	ds_write_b64 v22, v[150:151] offset:31744                  // 000000007E1C: D89A7C00 00009616
	v_mfma_f32_16x16x16_bf16 v[60:63], a[96:97], a[16:17], 0   // 000000007E24: D3E1003C 1A022160
	buffer_atomic_add_f32 v160, v8, s[32:35], 0 idxen          // 000000007E2C: E1342000 8008A008
	v_mfma_f32_16x16x16_bf16 v[60:63], a[98:99], a[18:19], v[60:63]// 000000007E34: D3E1003C 1CF22562
	ds_write_b64 v22, v[152:153] offset:32256                  // 000000007E3C: D89A7E00 00009816
	v_mfma_f32_16x16x16_bf16 v[60:63], a[100:101], a[20:21], v[60:63]// 000000007E44: D3E1003C 1CF22964
	v_mfma_f32_16x16x16_bf16 v[60:63], a[102:103], a[22:23], v[60:63]// 000000007E4C: D3E1003C 1CF22D66
	ds_write_b64 v22, v[154:155] offset:32768                  // 000000007E54: D89A8000 00009A16
	v_mfma_f32_16x16x16_bf16 v[64:67], a[104:105], a[0:1], 0   // 000000007E5C: D3E10040 1A020168
	buffer_atomic_add_f32 v161, v9, s[32:35], 0 idxen          // 000000007E64: E1342000 8008A109
	v_mfma_f32_16x16x16_bf16 v[64:67], a[106:107], a[2:3], v[64:67]// 000000007E6C: D3E10040 1D02056A
	ds_read_b128 v[124:127], v14 offset:13056                  // 000000007E74: D9FE3300 7C00000E
	ds_write_b32 v13, v40                                      // 000000007E7C: D81A0000 0000280D
	v_mfma_f32_16x16x16_bf16 v[64:67], a[108:109], a[4:5], v[64:67]// 000000007E84: D3E10040 1D02096C
	v_mfma_f32_16x16x16_bf16 v[64:67], a[110:111], a[6:7], v[64:67]// 000000007E8C: D3E10040 1D020D6E
	v_mfma_f32_16x16x16_bf16 v[68:71], a[104:105], a[8:9], 0   // 000000007E94: D3E10044 1A021168
	ds_read_b128 v[128:131], v14 offset:13568                  // 000000007E9C: D9FE3500 8000000E
	ds_write_b32 v13, v41 offset:1056                          // 000000007EA4: D81A0420 0000290D
	v_mfma_f32_16x16x16_bf16 v[68:71], a[106:107], a[10:11], v[68:71]// 000000007EAC: D3E10044 1D12156A
	buffer_atomic_add_f32 v162, v8, s[32:35], 0 idxen offset:128// 000000007EB4: E1342080 8008A208
	v_mfma_f32_16x16x16_bf16 v[68:71], a[108:109], a[12:13], v[68:71]// 000000007EBC: D3E10044 1D12196C
	v_mfma_f32_16x16x16_bf16 v[68:71], a[110:111], a[14:15], v[68:71]// 000000007EC4: D3E10044 1D121D6E
	ds_read_b128 v[132:135], v14 offset:15232                  // 000000007ECC: D9FE3B80 8400000E
	ds_write_b32 v13, v42 offset:2176                          // 000000007ED4: D81A0880 00002A0D
	v_mfma_f32_16x16x16_bf16 v[72:75], a[104:105], a[16:17], 0 // 000000007EDC: D3E10048 1A022168
	v_mfma_f32_16x16x16_bf16 v[72:75], a[106:107], a[18:19], v[72:75]// 000000007EE4: D3E10048 1D22256A
	buffer_atomic_add_f32 v163, v9, s[32:35], 0 idxen offset:128// 000000007EEC: E1342080 8008A309
	v_mfma_f32_16x16x16_bf16 v[72:75], a[108:109], a[20:21], v[72:75]// 000000007EF4: D3E10048 1D22296C
	ds_read_b128 v[136:139], v14 offset:15744                  // 000000007EFC: D9FE3D80 8800000E
	ds_write_b32 v13, v43 offset:3232                          // 000000007F04: D81A0CA0 00002B0D
	v_mfma_f32_16x16x16_bf16 v[72:75], a[110:111], a[22:23], v[72:75]// 000000007F0C: D3E10048 1D222D6E
	s_cmp_lt_i32 s83, 0xc0                                     // 000000007F14: BF04FF53 000000C0
	s_cbranch_scc0 label_10D0                                  // 000000007F1C: BF84006D
	s_cmp_le_i32 s83, 64                                       // 000000007F20: BF05C053
	s_cbranch_scc1 label_1063                                  // 000000007F24: BF850007
	s_cmp_le_i32 s83, 0x80                                     // 000000007F28: BF05FF53 00000080
	s_cbranch_scc1 label_1087                                  // 000000007F30: BF85001F
	s_cmp_lt_i32 s83, 0xc0                                     // 000000007F34: BF04FF53 000000C0
	s_cbranch_scc1 label_10AB                                  // 000000007F3C: BF850040
	s_branch label_10D0                                        // 000000007F40: BF820064

0000000000007f44 <label_1063>:
	s_mov_b32 s60, 0                                           // 000000007F44: BEBC0080
	v_and_b32_e32 v32, 15, v0                                  // 000000007F48: 2640008F
	v_add_u32_e64 v32, v32, s60                                // 000000007F4C: D1340020 00007920
	v_mul_i32_i24_e64 v33, s46, 16                             // 000000007F54: D1060021 0001202E
	v_add_u32_e32 v32, v32, v33                                // 000000007F5C: 68404320
	v_cmp_lt_u32_e64 s[60:61], v32, s83                        // 000000007F60: D0C9003C 0000A720
	s_nop 1                                                    // 000000007F68: BF800001
	v_cndmask_b32_e64 v52, v230, v52, s[60:61]                 // 000000007F6C: D1000034 00F269E6
	v_cndmask_b32_e64 v64, v230, v64, s[60:61]                 // 000000007F74: D1000040 00F281E6
	v_cndmask_b32_e64 v53, v230, v53, s[60:61]                 // 000000007F7C: D1000035 00F26BE6
	v_cndmask_b32_e64 v65, v230, v65, s[60:61]                 // 000000007F84: D1000041 00F283E6
	v_cndmask_b32_e64 v54, v230, v54, s[60:61]                 // 000000007F8C: D1000036 00F26DE6
	v_cndmask_b32_e64 v66, v230, v66, s[60:61]                 // 000000007F94: D1000042 00F285E6
	v_cndmask_b32_e64 v55, v230, v55, s[60:61]                 // 000000007F9C: D1000037 00F26FE6
	v_cndmask_b32_e64 v67, v230, v67, s[60:61]                 // 000000007FA4: D1000043 00F287E6
	s_branch label_10A2                                        // 000000007FAC: BF82001B

0000000000007fb0 <label_1087>:
	s_mov_b32 s60, 64                                          // 000000007FB0: BEBC00C0
	v_and_b32_e32 v32, 15, v0                                  // 000000007FB4: 2640008F
	v_add_u32_e64 v32, v32, s60                                // 000000007FB8: D1340020 00007920
	v_mul_i32_i24_e64 v33, s46, 16                             // 000000007FC0: D1060021 0001202E
	v_add_u32_e32 v32, v32, v33                                // 000000007FC8: 68404320
	v_cmp_lt_u32_e64 s[60:61], v32, s83                        // 000000007FCC: D0C9003C 0000A720
	s_nop 1                                                    // 000000007FD4: BF800001
	v_cndmask_b32_e64 v56, v230, v56, s[60:61]                 // 000000007FD8: D1000038 00F271E6
	v_cndmask_b32_e64 v68, v230, v68, s[60:61]                 // 000000007FE0: D1000044 00F289E6
	v_cndmask_b32_e64 v57, v230, v57, s[60:61]                 // 000000007FE8: D1000039 00F273E6
	v_cndmask_b32_e64 v69, v230, v69, s[60:61]                 // 000000007FF0: D1000045 00F28BE6
	v_cndmask_b32_e64 v58, v230, v58, s[60:61]                 // 000000007FF8: D100003A 00F275E6
	v_cndmask_b32_e64 v70, v230, v70, s[60:61]                 // 000000008000: D1000046 00F28DE6
	v_cndmask_b32_e64 v59, v230, v59, s[60:61]                 // 000000008008: D100003B 00F277E6
	v_cndmask_b32_e64 v71, v230, v71, s[60:61]                 // 000000008010: D1000047 00F28FE6
	s_branch label_10C7                                        // 000000008018: BF820025

000000000000801c <label_10A2>:
	v_mov_b32_e32 v56, v230                                    // 00000000801C: 7E7003E6
	v_mov_b32_e32 v68, v230                                    // 000000008020: 7E8803E6
	v_mov_b32_e32 v57, v230                                    // 000000008024: 7E7203E6
	v_mov_b32_e32 v69, v230                                    // 000000008028: 7E8A03E6
	v_mov_b32_e32 v58, v230                                    // 00000000802C: 7E7403E6
	v_mov_b32_e32 v70, v230                                    // 000000008030: 7E8C03E6
	v_mov_b32_e32 v59, v230                                    // 000000008034: 7E7603E6
	v_mov_b32_e32 v71, v230                                    // 000000008038: 7E8E03E6
	s_branch label_10C7                                        // 00000000803C: BF82001C

0000000000008040 <label_10AB>:
	s_mov_b32 s60, 0x80                                        // 000000008040: BEBC00FF 00000080
	v_and_b32_e32 v32, 15, v0                                  // 000000008048: 2640008F
	v_add_u32_e64 v32, v32, s60                                // 00000000804C: D1340020 00007920
	v_mul_i32_i24_e64 v33, s46, 16                             // 000000008054: D1060021 0001202E
	v_add_u32_e32 v32, v32, v33                                // 00000000805C: 68404320
	v_cmp_lt_u32_e64 s[60:61], v32, s83                        // 000000008060: D0C9003C 0000A720
	s_nop 1                                                    // 000000008068: BF800001
	v_cndmask_b32_e64 v60, v230, v60, s[60:61]                 // 00000000806C: D100003C 00F279E6
	v_cndmask_b32_e64 v72, v230, v72, s[60:61]                 // 000000008074: D1000048 00F291E6
	v_cndmask_b32_e64 v61, v230, v61, s[60:61]                 // 00000000807C: D100003D 00F27BE6
	v_cndmask_b32_e64 v73, v230, v73, s[60:61]                 // 000000008084: D1000049 00F293E6
	v_cndmask_b32_e64 v62, v230, v62, s[60:61]                 // 00000000808C: D100003E 00F27DE6
	v_cndmask_b32_e64 v74, v230, v74, s[60:61]                 // 000000008094: D100004A 00F295E6
	v_cndmask_b32_e64 v63, v230, v63, s[60:61]                 // 00000000809C: D100003F 00F27FE6
	v_cndmask_b32_e64 v75, v230, v75, s[60:61]                 // 0000000080A4: D100004B 00F297E6
	s_branch label_10D0                                        // 0000000080AC: BF820009

00000000000080b0 <label_10C7>:
	v_mov_b32_e32 v60, v230                                    // 0000000080B0: 7E7803E6
	v_mov_b32_e32 v72, v230                                    // 0000000080B4: 7E9003E6
	v_mov_b32_e32 v61, v230                                    // 0000000080B8: 7E7A03E6
	v_mov_b32_e32 v73, v230                                    // 0000000080BC: 7E9203E6
	v_mov_b32_e32 v62, v230                                    // 0000000080C0: 7E7C03E6
	v_mov_b32_e32 v74, v230                                    // 0000000080C4: 7E9403E6
	v_mov_b32_e32 v63, v230                                    // 0000000080C8: 7E7E03E6
	v_mov_b32_e32 v75, v230                                    // 0000000080CC: 7E9603E6
	s_branch label_10D0                                        // 0000000080D0: BF820000

00000000000080d4 <label_10D0>:
	s_waitcnt lgkmcnt(8)                                       // 0000000080D4: BF8CC87F
	s_barrier                                                  // 0000000080D8: BF8A0000
	v_mfma_f32_16x16x16_bf16 v[76:79], v[108:109], a[72:73], 0 // 0000000080DC: D3E1004C 1202916C
	v_fma_f32 v52, v52, s57, -v140                             // 0000000080E4: D1CB0034 86307334
	v_fma_f32 v53, v53, s57, -v141                             // 0000000080EC: D1CB0035 86347335
	v_fma_f32 v54, v54, s57, -v142                             // 0000000080F4: D1CB0036 86387336
	v_fma_f32 v55, v55, s57, -v143                             // 0000000080FC: D1CB0037 863C7337
	v_fma_f32 v56, v56, s57, -v140                             // 000000008104: D1CB0038 86307338
	v_fma_f32 v57, v57, s57, -v141                             // 00000000810C: D1CB0039 86347339
	v_mfma_f32_16x16x16_bf16 v[76:79], v[110:111], a[74:75], v[76:79]// 000000008114: D3E1004C 1532956E
	ds_read_b128 a[96:99], v14 offset:4352                     // 00000000811C: DBFE1100 6000000E
	ds_read_b128 a[100:103], v14 offset:4864                   // 000000008124: DBFE1300 6400000E
	v_mfma_f32_16x16x16_bf16 v[76:79], v[112:113], a[76:77], v[76:79]// 00000000812C: D3E1004C 15329970
	v_fma_f32 v58, v58, s57, -v142                             // 000000008134: D1CB003A 8638733A
	v_fma_f32 v59, v59, s57, -v143                             // 00000000813C: D1CB003B 863C733B
	v_fma_f32 v60, v60, s57, -v140                             // 000000008144: D1CB003C 8630733C
	v_fma_f32 v61, v61, s57, -v141                             // 00000000814C: D1CB003D 8634733D
	v_fma_f32 v62, v62, s57, -v142                             // 000000008154: D1CB003E 8638733E
	v_fma_f32 v63, v63, s57, -v143                             // 00000000815C: D1CB003F 863C733F
	v_mfma_f32_16x16x16_bf16 v[76:79], v[114:115], a[78:79], v[76:79]// 000000008164: D3E1004C 15329D72
	v_fma_f32 v64, v64, s57, -v144                             // 00000000816C: D1CB0040 86407340
	v_fma_f32 v65, v65, s57, -v145                             // 000000008174: D1CB0041 86447341
	v_fma_f32 v66, v66, s57, -v146                             // 00000000817C: D1CB0042 86487342
	v_fma_f32 v67, v67, s57, -v147                             // 000000008184: D1CB0043 864C7343
	v_fma_f32 v68, v68, s57, -v144                             // 00000000818C: D1CB0044 86407344
	v_fma_f32 v69, v69, s57, -v145                             // 000000008194: D1CB0045 86447345
	v_mfma_f32_16x16x16_bf16 v[80:83], v[108:109], a[80:81], 0 // 00000000819C: D3E10050 1202A16C
	v_fma_f32 v70, v70, s57, -v146                             // 0000000081A4: D1CB0046 86487346
	v_fma_f32 v71, v71, s57, -v147                             // 0000000081AC: D1CB0047 864C7347
	v_fma_f32 v72, v72, s57, -v144                             // 0000000081B4: D1CB0048 86407348
	v_fma_f32 v73, v73, s57, -v145                             // 0000000081BC: D1CB0049 86447349
	v_fma_f32 v74, v74, s57, -v146                             // 0000000081C4: D1CB004A 8648734A
	v_fma_f32 v75, v75, s57, -v147                             // 0000000081CC: D1CB004B 864C734B
	v_mfma_f32_16x16x16_bf16 v[80:83], v[110:111], a[82:83], v[80:83]// 0000000081D4: D3E10050 1542A56E
	ds_read_b128 a[104:107], v14 offset:6528                   // 0000000081DC: DBFE1980 6800000E
	ds_read_b128 a[108:111], v14 offset:7040                   // 0000000081E4: DBFE1B80 6C00000E
	v_mfma_f32_16x16x16_bf16 v[80:83], v[112:113], a[84:85], v[80:83]// 0000000081EC: D3E10050 1542A970
	v_exp_f32_e32 v52, v52                                     // 0000000081F4: 7E684134
	v_exp_f32_e32 v53, v53                                     // 0000000081F8: 7E6A4135
	v_mfma_f32_16x16x16_bf16 v[80:83], v[114:115], a[86:87], v[80:83]// 0000000081FC: D3E10050 1542AD72
	v_exp_f32_e32 v54, v54                                     // 000000008204: 7E6C4136
	v_exp_f32_e32 v55, v55                                     // 000000008208: 7E6E4137
	v_mfma_f32_16x16x16_bf16 v[84:87], v[108:109], a[88:89], 0 // 00000000820C: D3E10054 1202B16C
	v_exp_f32_e32 v56, v56                                     // 000000008214: 7E704138
	v_exp_f32_e32 v57, v57                                     // 000000008218: 7E724139
	v_mfma_f32_16x16x16_bf16 v[84:87], v[110:111], a[90:91], v[84:87]// 00000000821C: D3E10054 1552B56E
	ds_read_b64 v[156:157], v21 offset:31232                   // 000000008224: D8EC7A00 9C000015
	ds_read_b64 v[158:159], v21 offset:33280                   // 00000000822C: D8EC8200 9E000015
	v_mfma_f32_16x16x16_bf16 v[84:87], v[112:113], a[92:93], v[84:87]// 000000008234: D3E10054 1552B970
	v_exp_f32_e32 v58, v58                                     // 00000000823C: 7E74413A
	v_exp_f32_e32 v59, v59                                     // 000000008240: 7E76413B
	v_mfma_f32_16x16x16_bf16 v[84:87], v[114:115], a[94:95], v[84:87]// 000000008244: D3E10054 1552BD72
	ds_read_b64 v[160:161], v21 offset:35328                   // 00000000824C: D8EC8A00 A0000015
	ds_read_b64 v[162:163], v21 offset:37376                   // 000000008254: D8EC9200 A2000015
	v_mfma_f32_16x16x16_bf16 v[88:91], v[116:117], a[72:73], 0 // 00000000825C: D3E10058 12029174
	v_exp_f32_e32 v60, v60                                     // 000000008264: 7E78413C
	v_exp_f32_e32 v61, v61                                     // 000000008268: 7E7A413D
	v_mfma_f32_16x16x16_bf16 v[88:91], v[118:119], a[74:75], v[88:91]// 00000000826C: D3E10058 15629576
	v_exp_f32_e32 v62, v62                                     // 000000008274: 7E7C413E
	v_exp_f32_e32 v63, v63                                     // 000000008278: 7E7E413F
	v_mfma_f32_16x16x16_bf16 v[88:91], v[120:121], a[76:77], v[88:91]// 00000000827C: D3E10058 15629978
	v_exp_f32_e32 v64, v64                                     // 000000008284: 7E804140
	v_exp_f32_e32 v65, v65                                     // 000000008288: 7E824141
	v_mfma_f32_16x16x16_bf16 v[88:91], v[122:123], a[78:79], v[88:91]// 00000000828C: D3E10058 15629D7A
	v_exp_f32_e32 v66, v66                                     // 000000008294: 7E844142
	v_exp_f32_e32 v67, v67                                     // 000000008298: 7E864143
	v_mfma_f32_16x16x16_bf16 v[92:95], v[116:117], a[80:81], 0 // 00000000829C: D3E1005C 1202A174
	v_exp_f32_e32 v68, v68                                     // 0000000082A4: 7E884144
	v_exp_f32_e32 v69, v69                                     // 0000000082A8: 7E8A4145
	v_mfma_f32_16x16x16_bf16 v[92:95], v[118:119], a[82:83], v[92:95]// 0000000082AC: D3E1005C 1572A576
	v_exp_f32_e32 v70, v70                                     // 0000000082B4: 7E8C4146
	v_exp_f32_e32 v71, v71                                     // 0000000082B8: 7E8E4147
	v_mfma_f32_16x16x16_bf16 v[92:95], v[120:121], a[84:85], v[92:95]// 0000000082BC: D3E1005C 1572A978
	v_exp_f32_e32 v72, v72                                     // 0000000082C4: 7E904148
	v_exp_f32_e32 v73, v73                                     // 0000000082C8: 7E924149
	v_mfma_f32_16x16x16_bf16 v[92:95], v[122:123], a[86:87], v[92:95]// 0000000082CC: D3E1005C 1572AD7A
	v_exp_f32_e32 v74, v74                                     // 0000000082D4: 7E94414A
	v_exp_f32_e32 v75, v75                                     // 0000000082D8: 7E96414B
	v_mfma_f32_16x16x16_bf16 v[96:99], v[116:117], a[88:89], 0 // 0000000082DC: D3E10060 1202B174
	v_cmp_u_f32_e64 s[74:75], v52, v52                         // 0000000082E4: D048004A 00026934
	v_bfe_u32 v226, v52, 16, 1                                 // 0000000082EC: D1C800E2 02052134
	v_add3_u32 v226, v52, v226, v229                           // 0000000082F4: D1FF00E2 0797C534
	v_cndmask_b32_e64 v32, v226, v228, s[74:75]                // 0000000082FC: D1000020 012BC9E2
	v_lshrrev_b32_e32 v32, 16, v32                             // 000000008304: 20404090
	v_cmp_u_f32_e64 s[74:75], v53, v53                         // 000000008308: D048004A 00026B35
	v_bfe_u32 v226, v53, 16, 1                                 // 000000008310: D1C800E2 02052135
	v_add3_u32 v226, v53, v226, v229                           // 000000008318: D1FF00E2 0797C535
	v_cndmask_b32_e64 v33, v226, v228, s[74:75]                // 000000008320: D1000021 012BC9E2
	v_and_or_b32 v164, v33, v227, v32                          // 000000008328: D20100A4 0483C721
	v_cmp_u_f32_e64 s[74:75], v54, v54                         // 000000008330: D048004A 00026D36
	v_bfe_u32 v226, v54, 16, 1                                 // 000000008338: D1C800E2 02052136
	v_add3_u32 v226, v54, v226, v229                           // 000000008340: D1FF00E2 0797C536
	v_cndmask_b32_e64 v32, v226, v228, s[74:75]                // 000000008348: D1000020 012BC9E2
	v_lshrrev_b32_e32 v32, 16, v32                             // 000000008350: 20404090
	v_cmp_u_f32_e64 s[74:75], v55, v55                         // 000000008354: D048004A 00026F37
	v_bfe_u32 v226, v55, 16, 1                                 // 00000000835C: D1C800E2 02052137
	v_add3_u32 v226, v55, v226, v229                           // 000000008364: D1FF00E2 0797C537
	v_cndmask_b32_e64 v33, v226, v228, s[74:75]                // 00000000836C: D1000021 012BC9E2
	v_and_or_b32 v165, v33, v227, v32                          // 000000008374: D20100A5 0483C721
	v_cmp_u_f32_e64 s[74:75], v56, v56                         // 00000000837C: D048004A 00027138
	v_bfe_u32 v226, v56, 16, 1                                 // 000000008384: D1C800E2 02052138
	v_add3_u32 v226, v56, v226, v229                           // 00000000838C: D1FF00E2 0797C538
	v_cndmask_b32_e64 v32, v226, v228, s[74:75]                // 000000008394: D1000020 012BC9E2
	v_lshrrev_b32_e32 v32, 16, v32                             // 00000000839C: 20404090
	v_cmp_u_f32_e64 s[74:75], v57, v57                         // 0000000083A0: D048004A 00027339
	v_bfe_u32 v226, v57, 16, 1                                 // 0000000083A8: D1C800E2 02052139
	v_add3_u32 v226, v57, v226, v229                           // 0000000083B0: D1FF00E2 0797C539
	v_cndmask_b32_e64 v33, v226, v228, s[74:75]                // 0000000083B8: D1000021 012BC9E2
	v_and_or_b32 v166, v33, v227, v32                          // 0000000083C0: D20100A6 0483C721
	v_cmp_u_f32_e64 s[74:75], v58, v58                         // 0000000083C8: D048004A 0002753A
	v_bfe_u32 v226, v58, 16, 1                                 // 0000000083D0: D1C800E2 0205213A
	v_add3_u32 v226, v58, v226, v229                           // 0000000083D8: D1FF00E2 0797C53A
	v_cndmask_b32_e64 v32, v226, v228, s[74:75]                // 0000000083E0: D1000020 012BC9E2
	v_lshrrev_b32_e32 v32, 16, v32                             // 0000000083E8: 20404090
	v_cmp_u_f32_e64 s[74:75], v59, v59                         // 0000000083EC: D048004A 0002773B
	v_bfe_u32 v226, v59, 16, 1                                 // 0000000083F4: D1C800E2 0205213B
	v_add3_u32 v226, v59, v226, v229                           // 0000000083FC: D1FF00E2 0797C53B
	v_cndmask_b32_e64 v33, v226, v228, s[74:75]                // 000000008404: D1000021 012BC9E2
	v_and_or_b32 v167, v33, v227, v32                          // 00000000840C: D20100A7 0483C721
	v_cmp_u_f32_e64 s[74:75], v60, v60                         // 000000008414: D048004A 0002793C
	v_bfe_u32 v226, v60, 16, 1                                 // 00000000841C: D1C800E2 0205213C
	v_add3_u32 v226, v60, v226, v229                           // 000000008424: D1FF00E2 0797C53C
	v_cndmask_b32_e64 v32, v226, v228, s[74:75]                // 00000000842C: D1000020 012BC9E2
	v_lshrrev_b32_e32 v32, 16, v32                             // 000000008434: 20404090
	v_cmp_u_f32_e64 s[74:75], v61, v61                         // 000000008438: D048004A 00027B3D
	v_bfe_u32 v226, v61, 16, 1                                 // 000000008440: D1C800E2 0205213D
	v_add3_u32 v226, v61, v226, v229                           // 000000008448: D1FF00E2 0797C53D
	v_cndmask_b32_e64 v33, v226, v228, s[74:75]                // 000000008450: D1000021 012BC9E2
	v_and_or_b32 v168, v33, v227, v32                          // 000000008458: D20100A8 0483C721
	v_cmp_u_f32_e64 s[74:75], v62, v62                         // 000000008460: D048004A 00027D3E
	v_bfe_u32 v226, v62, 16, 1                                 // 000000008468: D1C800E2 0205213E
	v_add3_u32 v226, v62, v226, v229                           // 000000008470: D1FF00E2 0797C53E
	v_cndmask_b32_e64 v32, v226, v228, s[74:75]                // 000000008478: D1000020 012BC9E2
	v_lshrrev_b32_e32 v32, 16, v32                             // 000000008480: 20404090
	v_cmp_u_f32_e64 s[74:75], v63, v63                         // 000000008484: D048004A 00027F3F
	v_bfe_u32 v226, v63, 16, 1                                 // 00000000848C: D1C800E2 0205213F
	v_add3_u32 v226, v63, v226, v229                           // 000000008494: D1FF00E2 0797C53F
	v_cndmask_b32_e64 v33, v226, v228, s[74:75]                // 00000000849C: D1000021 012BC9E2
	v_and_or_b32 v169, v33, v227, v32                          // 0000000084A4: D20100A9 0483C721
	v_mfma_f32_16x16x16_bf16 v[96:99], v[118:119], a[90:91], v[96:99]// 0000000084AC: D3E10060 1582B576
	v_cmp_u_f32_e64 s[74:75], v64, v64                         // 0000000084B4: D048004A 00028140
	v_bfe_u32 v226, v64, 16, 1                                 // 0000000084BC: D1C800E2 02052140
	v_add3_u32 v226, v64, v226, v229                           // 0000000084C4: D1FF00E2 0797C540
	v_cndmask_b32_e64 v32, v226, v228, s[74:75]                // 0000000084CC: D1000020 012BC9E2
	v_lshrrev_b32_e32 v32, 16, v32                             // 0000000084D4: 20404090
	v_cmp_u_f32_e64 s[74:75], v65, v65                         // 0000000084D8: D048004A 00028341
	v_bfe_u32 v226, v65, 16, 1                                 // 0000000084E0: D1C800E2 02052141
	v_add3_u32 v226, v65, v226, v229                           // 0000000084E8: D1FF00E2 0797C541
	v_cndmask_b32_e64 v33, v226, v228, s[74:75]                // 0000000084F0: D1000021 012BC9E2
	v_and_or_b32 v170, v33, v227, v32                          // 0000000084F8: D20100AA 0483C721
	v_cmp_u_f32_e64 s[74:75], v66, v66                         // 000000008500: D048004A 00028542
	v_bfe_u32 v226, v66, 16, 1                                 // 000000008508: D1C800E2 02052142
	v_add3_u32 v226, v66, v226, v229                           // 000000008510: D1FF00E2 0797C542
	v_cndmask_b32_e64 v32, v226, v228, s[74:75]                // 000000008518: D1000020 012BC9E2
	v_lshrrev_b32_e32 v32, 16, v32                             // 000000008520: 20404090
	v_cmp_u_f32_e64 s[74:75], v67, v67                         // 000000008524: D048004A 00028743
	v_bfe_u32 v226, v67, 16, 1                                 // 00000000852C: D1C800E2 02052143
	v_add3_u32 v226, v67, v226, v229                           // 000000008534: D1FF00E2 0797C543
	v_cndmask_b32_e64 v33, v226, v228, s[74:75]                // 00000000853C: D1000021 012BC9E2
	v_and_or_b32 v171, v33, v227, v32                          // 000000008544: D20100AB 0483C721
	v_cmp_u_f32_e64 s[74:75], v68, v68                         // 00000000854C: D048004A 00028944
	v_bfe_u32 v226, v68, 16, 1                                 // 000000008554: D1C800E2 02052144
	v_add3_u32 v226, v68, v226, v229                           // 00000000855C: D1FF00E2 0797C544
	v_cndmask_b32_e64 v32, v226, v228, s[74:75]                // 000000008564: D1000020 012BC9E2
	v_lshrrev_b32_e32 v32, 16, v32                             // 00000000856C: 20404090
	v_cmp_u_f32_e64 s[74:75], v69, v69                         // 000000008570: D048004A 00028B45
	v_bfe_u32 v226, v69, 16, 1                                 // 000000008578: D1C800E2 02052145
	v_add3_u32 v226, v69, v226, v229                           // 000000008580: D1FF00E2 0797C545
	v_cndmask_b32_e64 v33, v226, v228, s[74:75]                // 000000008588: D1000021 012BC9E2
	v_and_or_b32 v172, v33, v227, v32                          // 000000008590: D20100AC 0483C721
	v_cmp_u_f32_e64 s[74:75], v70, v70                         // 000000008598: D048004A 00028D46
	v_bfe_u32 v226, v70, 16, 1                                 // 0000000085A0: D1C800E2 02052146
	v_add3_u32 v226, v70, v226, v229                           // 0000000085A8: D1FF00E2 0797C546
	v_cndmask_b32_e64 v32, v226, v228, s[74:75]                // 0000000085B0: D1000020 012BC9E2
	v_lshrrev_b32_e32 v32, 16, v32                             // 0000000085B8: 20404090
	v_cmp_u_f32_e64 s[74:75], v71, v71                         // 0000000085BC: D048004A 00028F47
	v_bfe_u32 v226, v71, 16, 1                                 // 0000000085C4: D1C800E2 02052147
	v_add3_u32 v226, v71, v226, v229                           // 0000000085CC: D1FF00E2 0797C547
	v_cndmask_b32_e64 v33, v226, v228, s[74:75]                // 0000000085D4: D1000021 012BC9E2
	v_and_or_b32 v173, v33, v227, v32                          // 0000000085DC: D20100AD 0483C721
	v_cmp_u_f32_e64 s[74:75], v72, v72                         // 0000000085E4: D048004A 00029148
	v_bfe_u32 v226, v72, 16, 1                                 // 0000000085EC: D1C800E2 02052148
	v_add3_u32 v226, v72, v226, v229                           // 0000000085F4: D1FF00E2 0797C548
	v_cndmask_b32_e64 v32, v226, v228, s[74:75]                // 0000000085FC: D1000020 012BC9E2
	v_lshrrev_b32_e32 v32, 16, v32                             // 000000008604: 20404090
	v_cmp_u_f32_e64 s[74:75], v73, v73                         // 000000008608: D048004A 00029349
	v_bfe_u32 v226, v73, 16, 1                                 // 000000008610: D1C800E2 02052149
	v_add3_u32 v226, v73, v226, v229                           // 000000008618: D1FF00E2 0797C549
	v_cndmask_b32_e64 v33, v226, v228, s[74:75]                // 000000008620: D1000021 012BC9E2
	v_and_or_b32 v174, v33, v227, v32                          // 000000008628: D20100AE 0483C721
	v_cmp_u_f32_e64 s[74:75], v74, v74                         // 000000008630: D048004A 0002954A
	v_bfe_u32 v226, v74, 16, 1                                 // 000000008638: D1C800E2 0205214A
	v_add3_u32 v226, v74, v226, v229                           // 000000008640: D1FF00E2 0797C54A
	v_cndmask_b32_e64 v32, v226, v228, s[74:75]                // 000000008648: D1000020 012BC9E2
	v_lshrrev_b32_e32 v32, 16, v32                             // 000000008650: 20404090
	v_cmp_u_f32_e64 s[74:75], v75, v75                         // 000000008654: D048004A 0002974B
	v_bfe_u32 v226, v75, 16, 1                                 // 00000000865C: D1C800E2 0205214B
	v_add3_u32 v226, v75, v226, v229                           // 000000008664: D1FF00E2 0797C54B
	v_cndmask_b32_e64 v33, v226, v228, s[74:75]                // 00000000866C: D1000021 012BC9E2
	v_and_or_b32 v175, v33, v227, v32                          // 000000008674: D20100AF 0483C721
	v_mfma_f32_16x16x16_bf16 v[96:99], v[120:121], a[92:93], v[96:99]// 00000000867C: D3E10060 1582B978
	v_add_u32_e32 v6, s66, v6                                  // 000000008684: 680C0C42
	v_add_u32_e32 v7, s66, v7                                  // 000000008688: 680E0E42
	v_add_u32_e32 v8, s66, v8                                  // 00000000868C: 68101042
	v_add_u32_e32 v9, s66, v9                                  // 000000008690: 68121242
	v_mfma_f32_16x16x16_bf16 v[96:99], v[122:123], a[94:95], v[96:99]// 000000008694: D3E10060 1582BD7A
	s_waitcnt lgkmcnt(0)                                       // 00000000869C: BF8CC07F
	s_barrier                                                  // 0000000086A0: BF8A0000
	v_mfma_f32_16x16x16_bf16 v[178:181], v[124:125], v[164:165], v[178:181]// 0000000086A4: D3E100B2 06CB497C
	v_subrev_f32_dpp v76, v176, v76 quad_perm:[0,0,0,0] row_mask:0xf bank_mask:0xf// 0000000086AC: 069898FA FF0000B0
	v_subrev_f32_dpp v77, v176, v77 quad_perm:[1,1,1,1] row_mask:0xf bank_mask:0xf// 0000000086B4: 069A9AFA FF0055B0
	v_subrev_f32_dpp v78, v176, v78 quad_perm:[2,2,2,2] row_mask:0xf bank_mask:0xf// 0000000086BC: 069C9CFA FF00AAB0
	v_subrev_f32_dpp v79, v176, v79 quad_perm:[3,3,3,3] row_mask:0xf bank_mask:0xf// 0000000086C4: 069E9EFA FF00FFB0
	v_subrev_f32_dpp v80, v176, v80 quad_perm:[0,0,0,0] row_mask:0xf bank_mask:0xf// 0000000086CC: 06A0A0FA FF0000B0
	v_subrev_f32_dpp v81, v176, v81 quad_perm:[1,1,1,1] row_mask:0xf bank_mask:0xf// 0000000086D4: 06A2A2FA FF0055B0
	v_mfma_f32_16x16x16_bf16 v[182:185], v[126:127], v[164:165], v[182:185]// 0000000086DC: D3E100B6 06DB497E
	v_subrev_f32_dpp v82, v176, v82 quad_perm:[2,2,2,2] row_mask:0xf bank_mask:0xf// 0000000086E4: 06A4A4FA FF00AAB0
	v_subrev_f32_dpp v83, v176, v83 quad_perm:[3,3,3,3] row_mask:0xf bank_mask:0xf// 0000000086EC: 06A6A6FA FF00FFB0
	v_subrev_f32_dpp v84, v176, v84 quad_perm:[0,0,0,0] row_mask:0xf bank_mask:0xf// 0000000086F4: 06A8A8FA FF0000B0
	v_subrev_f32_dpp v85, v176, v85 quad_perm:[1,1,1,1] row_mask:0xf bank_mask:0xf// 0000000086FC: 06AAAAFA FF0055B0
	v_subrev_f32_dpp v86, v176, v86 quad_perm:[2,2,2,2] row_mask:0xf bank_mask:0xf// 000000008704: 06ACACFA FF00AAB0
	v_subrev_f32_dpp v87, v176, v87 quad_perm:[3,3,3,3] row_mask:0xf bank_mask:0xf// 00000000870C: 06AEAEFA FF00FFB0
	v_mfma_f32_16x16x16_bf16 v[186:189], v[128:129], v[164:165], v[186:189]// 000000008714: D3E100BA 06EB4980
	v_mul_f32_e32 v76, v52, v76                                // 00000000871C: 0A989934
	v_mul_f32_e32 v77, v53, v77                                // 000000008720: 0A9A9B35
	v_mul_f32_e32 v78, v54, v78                                // 000000008724: 0A9C9D36
	v_mul_f32_e32 v79, v55, v79                                // 000000008728: 0A9E9F37
	v_mul_f32_e32 v80, v56, v80                                // 00000000872C: 0AA0A138
	v_mul_f32_e32 v81, v57, v81                                // 000000008730: 0AA2A339
	v_mfma_f32_16x16x16_bf16 v[190:193], v[130:131], v[164:165], v[190:193]// 000000008734: D3E100BE 06FB4982
	v_mul_f32_e32 v82, v58, v82                                // 00000000873C: 0AA4A53A
	v_mul_f32_e32 v83, v59, v83                                // 000000008740: 0AA6A73B
	v_mul_f32_e32 v84, v60, v84                                // 000000008744: 0AA8A93C
	v_mul_f32_e32 v85, v61, v85                                // 000000008748: 0AAAAB3D
	v_mul_f32_e32 v86, v62, v86                                // 00000000874C: 0AACAD3E
	v_mul_f32_e32 v87, v63, v87                                // 000000008750: 0AAEAF3F
	v_mfma_f32_16x16x16_bf16 v[194:197], v[124:125], v[166:167], v[194:197]// 000000008754: D3E100C2 070B4D7C
	v_cmp_u_f32_e64 s[74:75], v76, v76                         // 00000000875C: D048004A 0002994C
	v_bfe_u32 v226, v76, 16, 1                                 // 000000008764: D1C800E2 0205214C
	v_add3_u32 v226, v76, v226, v229                           // 00000000876C: D1FF00E2 0797C54C
	v_cndmask_b32_e64 v32, v226, v228, s[74:75]                // 000000008774: D1000020 012BC9E2
	v_lshrrev_b32_e32 v32, 16, v32                             // 00000000877C: 20404090
	v_cmp_u_f32_e64 s[74:75], v77, v77                         // 000000008780: D048004A 00029B4D
	v_bfe_u32 v226, v77, 16, 1                                 // 000000008788: D1C800E2 0205214D
	v_add3_u32 v226, v77, v226, v229                           // 000000008790: D1FF00E2 0797C54D
	v_cndmask_b32_e64 v33, v226, v228, s[74:75]                // 000000008798: D1000021 012BC9E2
	v_and_or_b32 v76, v33, v227, v32                           // 0000000087A0: D201004C 0483C721
	v_cmp_u_f32_e64 s[74:75], v78, v78                         // 0000000087A8: D048004A 00029D4E
	v_bfe_u32 v226, v78, 16, 1                                 // 0000000087B0: D1C800E2 0205214E
	v_add3_u32 v226, v78, v226, v229                           // 0000000087B8: D1FF00E2 0797C54E
	v_cndmask_b32_e64 v32, v226, v228, s[74:75]                // 0000000087C0: D1000020 012BC9E2
	v_lshrrev_b32_e32 v32, 16, v32                             // 0000000087C8: 20404090
	v_cmp_u_f32_e64 s[74:75], v79, v79                         // 0000000087CC: D048004A 00029F4F
	v_bfe_u32 v226, v79, 16, 1                                 // 0000000087D4: D1C800E2 0205214F
	v_add3_u32 v226, v79, v226, v229                           // 0000000087DC: D1FF00E2 0797C54F
	v_cndmask_b32_e64 v33, v226, v228, s[74:75]                // 0000000087E4: D1000021 012BC9E2
	v_and_or_b32 v77, v33, v227, v32                           // 0000000087EC: D201004D 0483C721
	v_cmp_u_f32_e64 s[74:75], v80, v80                         // 0000000087F4: D048004A 0002A150
	v_bfe_u32 v226, v80, 16, 1                                 // 0000000087FC: D1C800E2 02052150
	v_add3_u32 v226, v80, v226, v229                           // 000000008804: D1FF00E2 0797C550
	v_cndmask_b32_e64 v32, v226, v228, s[74:75]                // 00000000880C: D1000020 012BC9E2
	v_lshrrev_b32_e32 v32, 16, v32                             // 000000008814: 20404090
	v_cmp_u_f32_e64 s[74:75], v81, v81                         // 000000008818: D048004A 0002A351
	v_bfe_u32 v226, v81, 16, 1                                 // 000000008820: D1C800E2 02052151
	v_add3_u32 v226, v81, v226, v229                           // 000000008828: D1FF00E2 0797C551
	v_cndmask_b32_e64 v33, v226, v228, s[74:75]                // 000000008830: D1000021 012BC9E2
	v_and_or_b32 v78, v33, v227, v32                           // 000000008838: D201004E 0483C721
	v_cmp_u_f32_e64 s[74:75], v82, v82                         // 000000008840: D048004A 0002A552
	v_bfe_u32 v226, v82, 16, 1                                 // 000000008848: D1C800E2 02052152
	v_add3_u32 v226, v82, v226, v229                           // 000000008850: D1FF00E2 0797C552
	v_cndmask_b32_e64 v32, v226, v228, s[74:75]                // 000000008858: D1000020 012BC9E2
	v_lshrrev_b32_e32 v32, 16, v32                             // 000000008860: 20404090
	v_cmp_u_f32_e64 s[74:75], v83, v83                         // 000000008864: D048004A 0002A753
	v_bfe_u32 v226, v83, 16, 1                                 // 00000000886C: D1C800E2 02052153
	v_add3_u32 v226, v83, v226, v229                           // 000000008874: D1FF00E2 0797C553
	v_cndmask_b32_e64 v33, v226, v228, s[74:75]                // 00000000887C: D1000021 012BC9E2
	v_and_or_b32 v79, v33, v227, v32                           // 000000008884: D201004F 0483C721
	v_cmp_u_f32_e64 s[74:75], v84, v84                         // 00000000888C: D048004A 0002A954
	v_bfe_u32 v226, v84, 16, 1                                 // 000000008894: D1C800E2 02052154
	v_add3_u32 v226, v84, v226, v229                           // 00000000889C: D1FF00E2 0797C554
	v_cndmask_b32_e64 v32, v226, v228, s[74:75]                // 0000000088A4: D1000020 012BC9E2
	v_lshrrev_b32_e32 v32, 16, v32                             // 0000000088AC: 20404090
	v_cmp_u_f32_e64 s[74:75], v85, v85                         // 0000000088B0: D048004A 0002AB55
	v_bfe_u32 v226, v85, 16, 1                                 // 0000000088B8: D1C800E2 02052155
	v_add3_u32 v226, v85, v226, v229                           // 0000000088C0: D1FF00E2 0797C555
	v_cndmask_b32_e64 v33, v226, v228, s[74:75]                // 0000000088C8: D1000021 012BC9E2
	v_and_or_b32 v80, v33, v227, v32                           // 0000000088D0: D2010050 0483C721
	v_cmp_u_f32_e64 s[74:75], v86, v86                         // 0000000088D8: D048004A 0002AD56
	v_bfe_u32 v226, v86, 16, 1                                 // 0000000088E0: D1C800E2 02052156
	v_add3_u32 v226, v86, v226, v229                           // 0000000088E8: D1FF00E2 0797C556
	v_cndmask_b32_e64 v32, v226, v228, s[74:75]                // 0000000088F0: D1000020 012BC9E2
	v_lshrrev_b32_e32 v32, 16, v32                             // 0000000088F8: 20404090
	v_cmp_u_f32_e64 s[74:75], v87, v87                         // 0000000088FC: D048004A 0002AF57
	v_bfe_u32 v226, v87, 16, 1                                 // 000000008904: D1C800E2 02052157
	v_add3_u32 v226, v87, v226, v229                           // 00000000890C: D1FF00E2 0797C557
	v_cndmask_b32_e64 v33, v226, v228, s[74:75]                // 000000008914: D1000021 012BC9E2
	v_and_or_b32 v81, v33, v227, v32                           // 00000000891C: D2010051 0483C721
	v_mfma_f32_16x16x16_bf16 v[198:201], v[126:127], v[166:167], v[198:201]// 000000008924: D3E100C6 071B4D7E
	v_mov_b32_dpp v18, v76 quad_perm:[1,0,3,2] row_mask:0xf bank_mask:0xf// 00000000892C: 7E2402FA FF00B14C
	v_perm_b32 v52, v18, v76, v17                              // 000000008934: D1ED0034 04469912
	v_mov_b32_dpp v18, v77 quad_perm:[1,0,3,2] row_mask:0xf bank_mask:0xf// 00000000893C: 7E2402FA FF00B14D
	v_perm_b32 v53, v18, v77, v17                              // 000000008944: D1ED0035 04469B12
	v_mov_b32_dpp v18, v78 quad_perm:[1,0,3,2] row_mask:0xf bank_mask:0xf// 00000000894C: 7E2402FA FF00B14E
	v_perm_b32 v54, v18, v78, v17                              // 000000008954: D1ED0036 04469D12
	v_mfma_f32_16x16x16_bf16 v[202:205], v[128:129], v[166:167], v[202:205]// 00000000895C: D3E100CA 072B4D80
	ds_write_b32 v20, v52 offset:17408                         // 000000008964: D81A4400 00003414
	ds_write_b32 v20, v53 offset:17952                         // 00000000896C: D81A4620 00003514
	v_mfma_f32_16x16x16_bf16 v[206:209], v[130:131], v[166:167], v[206:209]// 000000008974: D3E100CE 073B4D82
	v_mov_b32_dpp v18, v79 quad_perm:[1,0,3,2] row_mask:0xf bank_mask:0xf// 00000000897C: 7E2402FA FF00B14F
	v_perm_b32 v55, v18, v79, v17                              // 000000008984: D1ED0037 04469F12
	v_mov_b32_dpp v18, v80 quad_perm:[1,0,3,2] row_mask:0xf bank_mask:0xf// 00000000898C: 7E2402FA FF00B150
	v_perm_b32 v56, v18, v80, v17                              // 000000008994: D1ED0038 0446A112
	v_mov_b32_dpp v18, v81 quad_perm:[1,0,3,2] row_mask:0xf bank_mask:0xf// 00000000899C: 7E2402FA FF00B151
	v_perm_b32 v57, v18, v81, v17                              // 0000000089A4: D1ED0039 0446A312
	v_mfma_f32_16x16x16_bf16 v[210:213], v[124:125], v[168:169], v[210:213]// 0000000089AC: D3E100D2 074B517C
	ds_write_b32 v20, v54 offset:19712                         // 0000000089B4: D81A4D00 00003614
	ds_write_b32 v20, v55 offset:20256                         // 0000000089BC: D81A4F20 00003714
	v_mfma_f32_16x16x16_bf16 v[214:217], v[126:127], v[168:169], v[214:217]// 0000000089C4: D3E100D6 075B517E
	v_subrev_f32_dpp v88, v177, v88 quad_perm:[0,0,0,0] row_mask:0xf bank_mask:0xf// 0000000089CC: 06B0B0FA FF0000B1
	v_subrev_f32_dpp v89, v177, v89 quad_perm:[1,1,1,1] row_mask:0xf bank_mask:0xf// 0000000089D4: 06B2B2FA FF0055B1
	v_subrev_f32_dpp v90, v177, v90 quad_perm:[2,2,2,2] row_mask:0xf bank_mask:0xf// 0000000089DC: 06B4B4FA FF00AAB1
	v_subrev_f32_dpp v91, v177, v91 quad_perm:[3,3,3,3] row_mask:0xf bank_mask:0xf// 0000000089E4: 06B6B6FA FF00FFB1
	v_subrev_f32_dpp v92, v177, v92 quad_perm:[0,0,0,0] row_mask:0xf bank_mask:0xf// 0000000089EC: 06B8B8FA FF0000B1
	v_subrev_f32_dpp v93, v177, v93 quad_perm:[1,1,1,1] row_mask:0xf bank_mask:0xf// 0000000089F4: 06BABAFA FF0055B1
	v_mfma_f32_16x16x16_bf16 v[218:221], v[128:129], v[168:169], v[218:221]// 0000000089FC: D3E100DA 076B5180
	ds_write_b32 v20, v56 offset:22016                         // 000000008A04: D81A5600 00003814
	ds_write_b32 v20, v57 offset:22560                         // 000000008A0C: D81A5820 00003914
	v_mfma_f32_16x16x16_bf16 v[222:225], v[130:131], v[168:169], v[222:225]// 000000008A14: D3E100DE 077B5182
	v_subrev_f32_dpp v94, v177, v94 quad_perm:[2,2,2,2] row_mask:0xf bank_mask:0xf// 000000008A1C: 06BCBCFA FF00AAB1
	v_subrev_f32_dpp v95, v177, v95 quad_perm:[3,3,3,3] row_mask:0xf bank_mask:0xf// 000000008A24: 06BEBEFA FF00FFB1
	v_subrev_f32_dpp v96, v177, v96 quad_perm:[0,0,0,0] row_mask:0xf bank_mask:0xf// 000000008A2C: 06C0C0FA FF0000B1
	v_subrev_f32_dpp v97, v177, v97 quad_perm:[1,1,1,1] row_mask:0xf bank_mask:0xf// 000000008A34: 06C2C2FA FF0055B1
	v_subrev_f32_dpp v98, v177, v98 quad_perm:[2,2,2,2] row_mask:0xf bank_mask:0xf// 000000008A3C: 06C4C4FA FF00AAB1
	v_subrev_f32_dpp v99, v177, v99 quad_perm:[3,3,3,3] row_mask:0xf bank_mask:0xf// 000000008A44: 06C6C6FA FF00FFB1
	v_mfma_f32_16x16x16_bf16 v[178:181], v[132:133], v[170:171], v[178:181]// 000000008A4C: D3E100B2 06CB5584
	v_mul_f32_e32 v88, v64, v88                                // 000000008A54: 0AB0B140
	v_mul_f32_e32 v89, v65, v89                                // 000000008A58: 0AB2B341
	v_mul_f32_e32 v90, v66, v90                                // 000000008A5C: 0AB4B542
	v_mul_f32_e32 v91, v67, v91                                // 000000008A60: 0AB6B743
	v_mul_f32_e32 v92, v68, v92                                // 000000008A64: 0AB8B944
	v_mul_f32_e32 v93, v69, v93                                // 000000008A68: 0ABABB45
	v_mfma_f32_16x16x16_bf16 v[182:185], v[134:135], v[170:171], v[182:185]// 000000008A6C: D3E100B6 06DB5586
	v_mul_f32_e32 v94, v70, v94                                // 000000008A74: 0ABCBD46
	v_mul_f32_e32 v95, v71, v95                                // 000000008A78: 0ABEBF47
	v_mul_f32_e32 v96, v72, v96                                // 000000008A7C: 0AC0C148
	v_mul_f32_e32 v97, v73, v97                                // 000000008A80: 0AC2C349
	v_mul_f32_e32 v98, v74, v98                                // 000000008A84: 0AC4C54A
	v_mul_f32_e32 v99, v75, v99                                // 000000008A88: 0AC6C74B
	v_mfma_f32_16x16x16_bf16 v[186:189], v[136:137], v[170:171], v[186:189]// 000000008A8C: D3E100BA 06EB5588
	v_cmp_u_f32_e64 s[74:75], v88, v88                         // 000000008A94: D048004A 0002B158
	v_bfe_u32 v226, v88, 16, 1                                 // 000000008A9C: D1C800E2 02052158
	v_add3_u32 v226, v88, v226, v229                           // 000000008AA4: D1FF00E2 0797C558
	v_cndmask_b32_e64 v32, v226, v228, s[74:75]                // 000000008AAC: D1000020 012BC9E2
	v_lshrrev_b32_e32 v32, 16, v32                             // 000000008AB4: 20404090
	v_cmp_u_f32_e64 s[74:75], v89, v89                         // 000000008AB8: D048004A 0002B359
	v_bfe_u32 v226, v89, 16, 1                                 // 000000008AC0: D1C800E2 02052159
	v_add3_u32 v226, v89, v226, v229                           // 000000008AC8: D1FF00E2 0797C559
	v_cndmask_b32_e64 v33, v226, v228, s[74:75]                // 000000008AD0: D1000021 012BC9E2
	v_and_or_b32 v82, v33, v227, v32                           // 000000008AD8: D2010052 0483C721
	v_cmp_u_f32_e64 s[74:75], v90, v90                         // 000000008AE0: D048004A 0002B55A
	v_bfe_u32 v226, v90, 16, 1                                 // 000000008AE8: D1C800E2 0205215A
	v_add3_u32 v226, v90, v226, v229                           // 000000008AF0: D1FF00E2 0797C55A
	v_cndmask_b32_e64 v32, v226, v228, s[74:75]                // 000000008AF8: D1000020 012BC9E2
	v_lshrrev_b32_e32 v32, 16, v32                             // 000000008B00: 20404090
	v_cmp_u_f32_e64 s[74:75], v91, v91                         // 000000008B04: D048004A 0002B75B
	v_bfe_u32 v226, v91, 16, 1                                 // 000000008B0C: D1C800E2 0205215B
	v_add3_u32 v226, v91, v226, v229                           // 000000008B14: D1FF00E2 0797C55B
	v_cndmask_b32_e64 v33, v226, v228, s[74:75]                // 000000008B1C: D1000021 012BC9E2
	v_and_or_b32 v83, v33, v227, v32                           // 000000008B24: D2010053 0483C721
	v_cmp_u_f32_e64 s[74:75], v92, v92                         // 000000008B2C: D048004A 0002B95C
	v_bfe_u32 v226, v92, 16, 1                                 // 000000008B34: D1C800E2 0205215C
	v_add3_u32 v226, v92, v226, v229                           // 000000008B3C: D1FF00E2 0797C55C
	v_cndmask_b32_e64 v32, v226, v228, s[74:75]                // 000000008B44: D1000020 012BC9E2
	v_lshrrev_b32_e32 v32, 16, v32                             // 000000008B4C: 20404090
	v_cmp_u_f32_e64 s[74:75], v93, v93                         // 000000008B50: D048004A 0002BB5D
	v_bfe_u32 v226, v93, 16, 1                                 // 000000008B58: D1C800E2 0205215D
	v_add3_u32 v226, v93, v226, v229                           // 000000008B60: D1FF00E2 0797C55D
	v_cndmask_b32_e64 v33, v226, v228, s[74:75]                // 000000008B68: D1000021 012BC9E2
	v_and_or_b32 v84, v33, v227, v32                           // 000000008B70: D2010054 0483C721
	v_cmp_u_f32_e64 s[74:75], v94, v94                         // 000000008B78: D048004A 0002BD5E
	v_bfe_u32 v226, v94, 16, 1                                 // 000000008B80: D1C800E2 0205215E
	v_add3_u32 v226, v94, v226, v229                           // 000000008B88: D1FF00E2 0797C55E
	v_cndmask_b32_e64 v32, v226, v228, s[74:75]                // 000000008B90: D1000020 012BC9E2
	v_lshrrev_b32_e32 v32, 16, v32                             // 000000008B98: 20404090
	v_cmp_u_f32_e64 s[74:75], v95, v95                         // 000000008B9C: D048004A 0002BF5F
	v_bfe_u32 v226, v95, 16, 1                                 // 000000008BA4: D1C800E2 0205215F
	v_add3_u32 v226, v95, v226, v229                           // 000000008BAC: D1FF00E2 0797C55F
	v_cndmask_b32_e64 v33, v226, v228, s[74:75]                // 000000008BB4: D1000021 012BC9E2
	v_and_or_b32 v85, v33, v227, v32                           // 000000008BBC: D2010055 0483C721
	v_cmp_u_f32_e64 s[74:75], v96, v96                         // 000000008BC4: D048004A 0002C160
	v_bfe_u32 v226, v96, 16, 1                                 // 000000008BCC: D1C800E2 02052160
	v_add3_u32 v226, v96, v226, v229                           // 000000008BD4: D1FF00E2 0797C560
	v_cndmask_b32_e64 v32, v226, v228, s[74:75]                // 000000008BDC: D1000020 012BC9E2
	v_lshrrev_b32_e32 v32, 16, v32                             // 000000008BE4: 20404090
	v_cmp_u_f32_e64 s[74:75], v97, v97                         // 000000008BE8: D048004A 0002C361
	v_bfe_u32 v226, v97, 16, 1                                 // 000000008BF0: D1C800E2 02052161
	v_add3_u32 v226, v97, v226, v229                           // 000000008BF8: D1FF00E2 0797C561
	v_cndmask_b32_e64 v33, v226, v228, s[74:75]                // 000000008C00: D1000021 012BC9E2
	v_and_or_b32 v86, v33, v227, v32                           // 000000008C08: D2010056 0483C721
	v_cmp_u_f32_e64 s[74:75], v98, v98                         // 000000008C10: D048004A 0002C562
	v_bfe_u32 v226, v98, 16, 1                                 // 000000008C18: D1C800E2 02052162
	v_add3_u32 v226, v98, v226, v229                           // 000000008C20: D1FF00E2 0797C562
	v_cndmask_b32_e64 v32, v226, v228, s[74:75]                // 000000008C28: D1000020 012BC9E2
	v_lshrrev_b32_e32 v32, 16, v32                             // 000000008C30: 20404090
	v_cmp_u_f32_e64 s[74:75], v99, v99                         // 000000008C34: D048004A 0002C763
	v_bfe_u32 v226, v99, 16, 1                                 // 000000008C3C: D1C800E2 02052163
	v_add3_u32 v226, v99, v226, v229                           // 000000008C44: D1FF00E2 0797C563
	v_cndmask_b32_e64 v33, v226, v228, s[74:75]                // 000000008C4C: D1000021 012BC9E2
	v_and_or_b32 v87, v33, v227, v32                           // 000000008C54: D2010057 0483C721
	v_mfma_f32_16x16x16_bf16 v[190:193], v[138:139], v[170:171], v[190:193]// 000000008C5C: D3E100BE 06FB558A
	v_mov_b32_dpp v18, v82 quad_perm:[1,0,3,2] row_mask:0xf bank_mask:0xf// 000000008C64: 7E2402FA FF00B152
	v_perm_b32 v58, v18, v82, v17                              // 000000008C6C: D1ED003A 0446A512
	v_mov_b32_dpp v18, v83 quad_perm:[1,0,3,2] row_mask:0xf bank_mask:0xf// 000000008C74: 7E2402FA FF00B153
	v_perm_b32 v59, v18, v83, v17                              // 000000008C7C: D1ED003B 0446A712
	v_mov_b32_dpp v18, v84 quad_perm:[1,0,3,2] row_mask:0xf bank_mask:0xf// 000000008C84: 7E2402FA FF00B154
	v_perm_b32 v60, v18, v84, v17                              // 000000008C8C: D1ED003C 0446A912
	v_mfma_f32_16x16x16_bf16 v[194:197], v[132:133], v[172:173], v[194:197]// 000000008C94: D3E100C2 070B5984
	ds_write_b32 v20, v58 offset:24320                         // 000000008C9C: D81A5F00 00003A14
	ds_write_b32 v20, v59 offset:24864                         // 000000008CA4: D81A6120 00003B14
	v_mfma_f32_16x16x16_bf16 v[198:201], v[134:135], v[172:173], v[198:201]// 000000008CAC: D3E100C6 071B5986
	v_mov_b32_dpp v18, v85 quad_perm:[1,0,3,2] row_mask:0xf bank_mask:0xf// 000000008CB4: 7E2402FA FF00B155
	v_perm_b32 v61, v18, v85, v17                              // 000000008CBC: D1ED003D 0446AB12
	v_mov_b32_dpp v18, v86 quad_perm:[1,0,3,2] row_mask:0xf bank_mask:0xf// 000000008CC4: 7E2402FA FF00B156
	v_perm_b32 v62, v18, v86, v17                              // 000000008CCC: D1ED003E 0446AD12
	v_mov_b32_dpp v18, v87 quad_perm:[1,0,3,2] row_mask:0xf bank_mask:0xf// 000000008CD4: 7E2402FA FF00B157
	v_perm_b32 v63, v18, v87, v17                              // 000000008CDC: D1ED003F 0446AF12
	v_mfma_f32_16x16x16_bf16 v[202:205], v[136:137], v[172:173], v[202:205]// 000000008CE4: D3E100CA 072B5988
	ds_write_b32 v20, v60 offset:26624                         // 000000008CEC: D81A6800 00003C14
	ds_write_b32 v20, v61 offset:27168                         // 000000008CF4: D81A6A20 00003D14
	ds_write_b32 v20, v62 offset:28928                         // 000000008CFC: D81A7100 00003E14
	ds_write_b32 v20, v63 offset:29472                         // 000000008D04: D81A7320 00003F14
	v_mfma_f32_16x16x16_bf16 v[206:209], v[138:139], v[172:173], v[206:209]// 000000008D0C: D3E100CE 073B598A
	v_mfma_f32_16x16x16_bf16 v[210:213], v[132:133], v[174:175], v[210:213]// 000000008D14: D3E100D2 074B5D84
	ds_write_b32 v15, v100 offset:4352                         // 000000008D1C: D81A1100 0000640F
	ds_write_b32 v15, v101 offset:5408                         // 000000008D24: D81A1520 0000650F
	v_mfma_f32_16x16x16_bf16 v[214:217], v[134:135], v[174:175], v[214:217]// 000000008D2C: D3E100D6 075B5D86
	v_mfma_f32_16x16x16_bf16 v[218:221], v[136:137], v[174:175], v[218:221]// 000000008D34: D3E100DA 076B5D88
	ds_write_b32 v15, v102 offset:6528                         // 000000008D3C: D81A1980 0000660F
	ds_write_b32 v15, v103 offset:7584                         // 000000008D44: D81A1DA0 0000670F
	v_mfma_f32_16x16x16_bf16 v[222:225], v[138:139], v[174:175], v[222:225]// 000000008D4C: D3E100DE 077B5D8A
	s_nop 0                                                    // 000000008D54: BF800000
	s_nop 0                                                    // 000000008D58: BF800000
	s_nop 0                                                    // 000000008D5C: BF800000
	s_barrier                                                  // 000000008D60: BF8A0000
	v_mfma_f32_16x16x16_bf16 a[112:115], a[96:97], v[76:77], a[112:115]// 000000008D64: D3E18070 0DC29960
	ds_read_b32 v140, v23 offset:39936                         // 000000008D6C: D86C9C00 8C000017
	ds_read_b32 v144, v23 offset:40000                         // 000000008D74: D86C9C40 90000017
	ds_read_b32 v176, v23 offset:40192                         // 000000008D7C: D86C9D00 B0000017
	ds_read_b32 v177, v23 offset:40256                         // 000000008D84: D86C9D40 B1000017
	v_mfma_f32_16x16x16_bf16 a[116:119], a[98:99], v[76:77], a[116:119]// 000000008D8C: D3E18074 0DD29962
	buffer_atomic_add_f32 v156, v6, s[32:35], 0 idxen          // 000000008D94: E1342000 80089C06
	v_mfma_f32_16x16x16_bf16 a[120:123], a[100:101], v[76:77], a[120:123]// 000000008D9C: D3E18078 0DE29964
	s_waitcnt lgkmcnt(8)                                       // 000000008DA4: BF8CC87F
	s_barrier                                                  // 000000008DA8: BF8A0000
	v_mfma_f32_16x16x16_bf16 a[124:127], a[102:103], v[76:77], a[124:127]// 000000008DAC: D3E1807C 0DF29966
	v_mfma_f32_16x16x16_bf16 a[128:131], a[96:97], v[78:79], a[128:131]// 000000008DB4: D3E18080 0E029D60
	ds_read_b128 v[52:55], v19 offset:17408                    // 000000008DBC: D9FE4400 34000013
	v_mfma_f32_16x16x16_bf16 a[132:135], a[98:99], v[78:79], a[132:135]// 000000008DC4: D3E18084 0E129D62
	v_mfma_f32_16x16x16_bf16 a[136:139], a[100:101], v[78:79], a[136:139]// 000000008DCC: D3E18088 0E229D64
	ds_read_b128 v[56:59], v19 offset:18560                    // 000000008DD4: D9FE4880 38000013
	v_mfma_f32_16x16x16_bf16 a[140:143], a[102:103], v[78:79], a[140:143]// 000000008DDC: D3E1808C 0E329D66
	buffer_atomic_add_f32 v157, v7, s[32:35], 0 idxen          // 000000008DE4: E1342000 80089D07
	v_mfma_f32_16x16x16_bf16 a[144:147], a[96:97], v[80:81], a[144:147]// 000000008DEC: D3E18090 0E42A160
	ds_read_b128 v[60:63], v19 offset:19712                    // 000000008DF4: D9FE4D00 3C000013
	v_mfma_f32_16x16x16_bf16 a[148:151], a[98:99], v[80:81], a[148:151]// 000000008DFC: D3E18094 0E52A162
	v_mfma_f32_16x16x16_bf16 a[152:155], a[100:101], v[80:81], a[152:155]// 000000008E04: D3E18098 0E62A164
	ds_read_b128 v[64:67], v19 offset:20864                    // 000000008E0C: D9FE5180 40000013
	v_mfma_f32_16x16x16_bf16 a[156:159], a[102:103], v[80:81], a[156:159]// 000000008E14: D3E1809C 0E72A166
	v_mfma_f32_16x16x16_bf16 a[112:115], a[104:105], v[82:83], a[112:115]// 000000008E1C: D3E18070 0DC2A568
	ds_read_b128 v[68:71], v19 offset:22016                    // 000000008E24: D9FE5600 44000013
	v_mfma_f32_16x16x16_bf16 a[116:119], a[106:107], v[82:83], a[116:119]// 000000008E2C: D3E18074 0DD2A56A
	buffer_atomic_add_f32 v158, v6, s[32:35], 0 idxen offset:128// 000000008E34: E1342080 80089E06
	v_mfma_f32_16x16x16_bf16 a[120:123], a[108:109], v[82:83], a[120:123]// 000000008E3C: D3E18078 0DE2A56C
	ds_read_b128 v[72:75], v19 offset:23168                    // 000000008E44: D9FE5A80 48000013
	v_mfma_f32_16x16x16_bf16 a[124:127], a[110:111], v[82:83], a[124:127]// 000000008E4C: D3E1807C 0DF2A56E
	v_mfma_f32_16x16x16_bf16 a[128:131], a[104:105], v[84:85], a[128:131]// 000000008E54: D3E18080 0E02A968
	ds_write_b32 v15, v104 offset:13056                        // 000000008E5C: D81A3300 0000680F
	v_mfma_f32_16x16x16_bf16 a[132:135], a[106:107], v[84:85], a[132:135]// 000000008E64: D3E18084 0E12A96A
	v_mfma_f32_16x16x16_bf16 a[136:139], a[108:109], v[84:85], a[136:139]// 000000008E6C: D3E18088 0E22A96C
	ds_write_b32 v15, v105 offset:14112                        // 000000008E74: D81A3720 0000690F
	v_mfma_f32_16x16x16_bf16 a[140:143], a[110:111], v[84:85], a[140:143]// 000000008E7C: D3E1808C 0E32A96E
	buffer_atomic_add_f32 v159, v7, s[32:35], 0 idxen offset:128// 000000008E84: E1342080 80089F07
	v_mfma_f32_16x16x16_bf16 a[144:147], a[104:105], v[86:87], a[144:147]// 000000008E8C: D3E18090 0E42AD68
	ds_write_b32 v15, v106 offset:15232                        // 000000008E94: D81A3B80 00006A0F
	v_mfma_f32_16x16x16_bf16 a[148:151], a[106:107], v[86:87], a[148:151]// 000000008E9C: D3E18094 0E52AD6A
	v_mfma_f32_16x16x16_bf16 a[152:155], a[108:109], v[86:87], a[152:155]// 000000008EA4: D3E18098 0E62AD6C
	ds_write_b32 v15, v107 offset:16288                        // 000000008EAC: D81A3FA0 00006B0F
	v_mfma_f32_16x16x16_bf16 a[156:159], a[110:111], v[86:87], a[156:159]// 000000008EB4: D3E1809C 0E72AD6E
	s_waitcnt vmcnt(8) lgkmcnt(4)                              // 000000008EBC: BF8C0478
	s_barrier                                                  // 000000008EC0: BF8A0000
	v_mfma_f32_16x16x16_bf16 v[148:151], v[52:53], a[24:25], 0 // 000000008EC4: D3E10094 12023134
	ds_read_b128 a[96:99], v12                                 // 000000008ECC: DBFE0000 6000000C
	buffer_load_dword v40, v1, s[8:11], 0 idxen                // 000000008ED4: E0502000 80022801
	v_mfma_f32_16x16x16_bf16 v[148:151], v[54:55], a[28:29], v[148:151]// 000000008EDC: D3E10094 16523936
	v_mul_f32_e32 v140, s48, v140                              // 000000008EE4: 0B191830
	v_mul_f32_e32 v144, s48, v144                              // 000000008EE8: 0B212030
	s_nop 0                                                    // 000000008EEC: BF800000
	v_mfma_f32_16x16x16_bf16 v[148:151], v[56:57], a[32:33], v[148:151]// 000000008EF0: D3E10094 16524138
	ds_read_b128 a[100:103], v12 offset:512                    // 000000008EF8: DBFE0200 6400000C
	buffer_load_dword v41, v2, s[8:11], 0 idxen                // 000000008F00: E0502000 80022902
	v_mfma_f32_16x16x16_bf16 v[148:151], v[58:59], a[36:37], v[148:151]// 000000008F08: D3E10094 1652493A
	v_mfma_f32_16x16x16_bf16 v[148:151], v[60:61], a[40:41], v[148:151]// 000000008F10: D3E10094 1652513C
	ds_read_b128 a[104:107], v12 offset:2176                   // 000000008F18: DBFE0880 6800000C
	buffer_load_dword v42, v3, s[8:11], 0 idxen                // 000000008F20: E0502000 80022A03
	v_mfma_f32_16x16x16_bf16 v[148:151], v[62:63], a[44:45], v[148:151]// 000000008F28: D3E10094 1652593E
	v_perm_b32 v100, v37, v36, s63                             // 000000008F30: D1ED0064 00FE4925
	v_perm_b32 v101, v37, v36, s64                             // 000000008F38: D1ED0065 01024925
	v_mfma_f32_16x16x16_bf16 v[148:151], v[64:65], a[48:49], v[148:151]// 000000008F40: D3E10094 16526140
	ds_read_b128 a[108:111], v12 offset:2688                   // 000000008F48: DBFE0A80 6C00000C
	buffer_load_dword v43, v4, s[8:11], 0 idxen                // 000000008F50: E0502000 80022B04
	v_mfma_f32_16x16x16_bf16 v[148:151], v[66:67], a[52:53], v[148:151]// 000000008F58: D3E10094 16526942
	v_perm_b32 v102, v39, v38, s63                             // 000000008F60: D1ED0066 00FE4D27
	v_perm_b32 v103, v39, v38, s64                             // 000000008F68: D1ED0067 01024D27
	v_mfma_f32_16x16x16_bf16 v[148:151], v[68:69], a[56:57], v[148:151]// 000000008F70: D3E10094 16527144
	ds_read_b128 v[108:111], v12 offset:8704                   // 000000008F78: D9FE2200 6C00000C
	buffer_load_dword v48, v231, s[20:23], 0 idxen             // 000000008F80: E0502000 800530E7
	v_mfma_f32_16x16x16_bf16 v[148:151], v[70:71], a[60:61], v[148:151]// 000000008F88: D3E10094 16527946
	v_perm_b32 v104, v45, v44, s63                             // 000000008F90: D1ED0068 00FE592D
	v_perm_b32 v105, v45, v44, s64                             // 000000008F98: D1ED0069 0102592D
	v_mfma_f32_16x16x16_bf16 v[148:151], v[72:73], a[64:65], v[148:151]// 000000008FA0: D3E10094 16528148
	ds_read_b128 v[112:115], v12 offset:9216                   // 000000008FA8: D9FE2400 7000000C
	buffer_load_dword v49, v232, s[20:23], 0 idxen             // 000000008FB0: E0502000 800531E8
	v_mfma_f32_16x16x16_bf16 v[148:151], v[74:75], a[68:69], v[148:151]// 000000008FB8: D3E10094 1652894A
	v_perm_b32 v106, v47, v46, s63                             // 000000008FC0: D1ED006A 00FE5D2F
	v_perm_b32 v107, v47, v46, s64                             // 000000008FC8: D1ED006B 01025D2F
	v_mfma_f32_16x16x16_bf16 v[152:155], v[52:53], a[26:27], 0 // 000000008FD0: D3E10098 12023534
	ds_read_b128 v[116:119], v12 offset:10880                  // 000000008FD8: D9FE2A80 7400000C
	buffer_load_dword v50, v233, s[20:23], 0 idxen             // 000000008FE0: E0502000 800532E9
	v_mfma_f32_16x16x16_bf16 v[152:155], v[54:55], a[30:31], v[152:155]// 000000008FE8: D3E10098 16623D36
	v_mov_b32_dpp v143, v140 quad_perm:[3,3,3,3] row_mask:0xf bank_mask:0xf// 000000008FF0: 7F1E02FA FF00FF8C
	v_mov_b32_dpp v142, v140 quad_perm:[2,2,2,2] row_mask:0xf bank_mask:0xf// 000000008FF8: 7F1C02FA FF00AA8C
	v_mov_b32_dpp v141, v140 quad_perm:[1,1,1,1] row_mask:0xf bank_mask:0xf// 000000009000: 7F1A02FA FF00558C
	v_mov_b32_dpp v140, v140 quad_perm:[0,0,0,0] row_mask:0xf bank_mask:0xf// 000000009008: 7F1802FA FF00008C
	v_mfma_f32_16x16x16_bf16 v[152:155], v[56:57], a[34:35], v[152:155]// 000000009010: D3E10098 16624538
	ds_read_b128 v[120:123], v12 offset:11392                  // 000000009018: D9FE2C80 7800000C
	buffer_load_dword v51, v234, s[20:23], 0 idxen             // 000000009020: E0502000 800533EA
	v_mfma_f32_16x16x16_bf16 v[152:155], v[58:59], a[38:39], v[152:155]// 000000009028: D3E10098 16624D3A
	v_mov_b32_dpp v147, v144 quad_perm:[3,3,3,3] row_mask:0xf bank_mask:0xf// 000000009030: 7F2602FA FF00FF90
	v_mov_b32_dpp v146, v144 quad_perm:[2,2,2,2] row_mask:0xf bank_mask:0xf// 000000009038: 7F2402FA FF00AA90
	v_mov_b32_dpp v145, v144 quad_perm:[1,1,1,1] row_mask:0xf bank_mask:0xf// 000000009040: 7F2202FA FF005590
	v_mov_b32_dpp v144, v144 quad_perm:[0,0,0,0] row_mask:0xf bank_mask:0xf// 000000009048: 7F2002FA FF000090
	s_add_u32 s60, 0x80, s59                                   // 000000009050: 803C3BFF 00000080
	v_mfma_f32_16x16x16_bf16 v[152:155], v[60:61], a[42:43], v[152:155]// 000000009058: D3E10098 1662553C
	buffer_load_dword v11, s[24:27], 0 idxen lds               // 000000009060: E0512000 8006000B
	v_mfma_f32_16x16x16_bf16 v[152:155], v[62:63], a[46:47], v[152:155]// 000000009068: D3E10098 16625D3E
	s_cmp_lt_u32 s60, s58                                      // 000000009070: BF0A3A3C
	s_cselect_b32 s68, s68, 0                                  // 000000009074: 85448044
	s_cselect_b32 s81, s81, 0                                  // 000000009078: 85518051
	s_cselect_b32 s69, s69, 0                                  // 00000000907C: 85458045
	v_mfma_f32_16x16x16_bf16 v[152:155], v[64:65], a[50:51], v[152:155]// 000000009080: D3E10098 16626540
	v_add_u32_e32 v1, s68, v1                                  // 000000009088: 68020244
	v_add_u32_e32 v2, s68, v2                                  // 00000000908C: 68040444
	v_add_u32_e32 v3, s68, v3                                  // 000000009090: 68060644
	v_add_u32_e32 v4, s68, v4                                  // 000000009094: 68080844
	v_mfma_f32_16x16x16_bf16 v[152:155], v[66:67], a[54:55], v[152:155]// 000000009098: D3E10098 16626D42
	v_add_u32_e32 v231, s81, v231                              // 0000000090A0: 69CFCE51
	v_add_u32_e32 v232, s81, v232                              // 0000000090A4: 69D1D051
	v_add_u32_e32 v233, s81, v233                              // 0000000090A8: 69D3D251
	v_add_u32_e32 v234, s81, v234                              // 0000000090AC: 69D5D451
	v_mfma_f32_16x16x16_bf16 v[152:155], v[68:69], a[58:59], v[152:155]// 0000000090B0: D3E10098 16627544
	s_mov_b32 m0, s76                                          // 0000000090B8: BEFC004C
	v_add_u32_e32 v11, s69, v11                                // 0000000090BC: 68161645
	v_mfma_f32_16x16x16_bf16 v[152:155], v[70:71], a[62:63], v[152:155]// 0000000090C0: D3E10098 16627D46
	s_cmp_ge_u32 s59, 32                                       // 0000000090C8: BF09A03B
	s_cselect_b32 s66, s67, s66                                // 0000000090CC: 85424243
	v_mfma_f32_16x16x16_bf16 v[152:155], v[72:73], a[66:67], v[152:155]// 0000000090D0: D3E10098 16628548
	s_addk_i32 s59, 0x20                                       // 0000000090D8: B73B0020
	s_nop 0                                                    // 0000000090DC: BF800000
	s_cmp_lt_i32 s59, s58                                      // 0000000090E0: BF043A3B
	v_mfma_f32_16x16x16_bf16 v[152:155], v[74:75], a[70:71], v[152:155]// 0000000090E4: D3E10098 16628D4A
	s_cbranch_scc0 label_0FF2                                  // 0000000090EC: BF84FB24
	s_waitcnt lgkmcnt(4)                                       // 0000000090F0: BF8CC47F
	s_barrier                                                  // 0000000090F4: BF8A0000
	v_mfma_f32_16x16x16_bf16 v[52:55], a[96:97], a[0:1], 0     // 0000000090F8: D3E10034 1A020160
	v_mul_f32_e32 v148, s47, v148                              // 000000009100: 0B29282F
	v_mul_f32_e32 v149, s47, v149                              // 000000009104: 0B2B2A2F
	v_mfma_f32_16x16x16_bf16 v[52:55], a[98:99], a[2:3], v[52:55]// 000000009108: D3E10034 1CD20562
	ds_write_b32 v13, v44 offset:8704                          // 000000009110: D81A2200 00002C0D
	ds_write_b32 v13, v45 offset:9760                          // 000000009118: D81A2620 00002D0D
	v_mfma_f32_16x16x16_bf16 v[52:55], a[100:101], a[4:5], v[52:55]// 000000009120: D3E10034 1CD20964
	v_mul_f32_e32 v150, s47, v150                              // 000000009128: 0B2D2C2F
	v_mul_f32_e32 v151, s47, v151                              // 00000000912C: 0B2F2E2F
	v_mfma_f32_16x16x16_bf16 v[52:55], a[102:103], a[6:7], v[52:55]// 000000009130: D3E10034 1CD20D66
	ds_write_b32 v13, v46 offset:10880                         // 000000009138: D81A2A80 00002E0D
	ds_write_b32 v13, v47 offset:11936                         // 000000009140: D81A2EA0 00002F0D
	v_mfma_f32_16x16x16_bf16 v[56:59], a[96:97], a[8:9], 0     // 000000009148: D3E10038 1A021160
	v_mul_f32_e32 v152, s47, v152                              // 000000009150: 0B31302F
	v_mul_f32_e32 v153, s47, v153                              // 000000009154: 0B33322F
	v_mfma_f32_16x16x16_bf16 v[56:59], a[98:99], a[10:11], v[56:59]// 000000009158: D3E10038 1CE21562
	ds_write_b64 v22, v[148:149] offset:31232                  // 000000009160: D89A7A00 00009416
	v_mfma_f32_16x16x16_bf16 v[56:59], a[100:101], a[12:13], v[56:59]// 000000009168: D3E10038 1CE21964
	v_mul_f32_e32 v154, s47, v154                              // 000000009170: 0B35342F
	v_mul_f32_e32 v155, s47, v155                              // 000000009174: 0B37362F
	v_mfma_f32_16x16x16_bf16 v[56:59], a[102:103], a[14:15], v[56:59]// 000000009178: D3E10038 1CE21D66
	ds_write_b64 v22, v[150:151] offset:31744                  // 000000009180: D89A7C00 00009616
	v_mfma_f32_16x16x16_bf16 v[60:63], a[96:97], a[16:17], 0   // 000000009188: D3E1003C 1A022160
	buffer_atomic_add_f32 v160, v8, s[32:35], 0 idxen          // 000000009190: E1342000 8008A008
	v_mfma_f32_16x16x16_bf16 v[60:63], a[98:99], a[18:19], v[60:63]// 000000009198: D3E1003C 1CF22562
	ds_write_b64 v22, v[152:153] offset:32256                  // 0000000091A0: D89A7E00 00009816
	v_mfma_f32_16x16x16_bf16 v[60:63], a[100:101], a[20:21], v[60:63]// 0000000091A8: D3E1003C 1CF22964
	v_mfma_f32_16x16x16_bf16 v[60:63], a[102:103], a[22:23], v[60:63]// 0000000091B0: D3E1003C 1CF22D66
	ds_write_b64 v22, v[154:155] offset:32768                  // 0000000091B8: D89A8000 00009A16
	v_mfma_f32_16x16x16_bf16 v[64:67], a[104:105], a[0:1], 0   // 0000000091C0: D3E10040 1A020168
	buffer_atomic_add_f32 v161, v9, s[32:35], 0 idxen          // 0000000091C8: E1342000 8008A109
	v_mfma_f32_16x16x16_bf16 v[64:67], a[106:107], a[2:3], v[64:67]// 0000000091D0: D3E10040 1D02056A
	ds_read_b128 v[124:127], v14 offset:13056                  // 0000000091D8: D9FE3300 7C00000E
	ds_write_b32 v13, v36                                      // 0000000091E0: D81A0000 0000240D
	v_mfma_f32_16x16x16_bf16 v[64:67], a[108:109], a[4:5], v[64:67]// 0000000091E8: D3E10040 1D02096C
	v_mfma_f32_16x16x16_bf16 v[64:67], a[110:111], a[6:7], v[64:67]// 0000000091F0: D3E10040 1D020D6E
	v_mfma_f32_16x16x16_bf16 v[68:71], a[104:105], a[8:9], 0   // 0000000091F8: D3E10044 1A021168
	ds_read_b128 v[128:131], v14 offset:13568                  // 000000009200: D9FE3500 8000000E
	ds_write_b32 v13, v37 offset:1056                          // 000000009208: D81A0420 0000250D
	v_mfma_f32_16x16x16_bf16 v[68:71], a[106:107], a[10:11], v[68:71]// 000000009210: D3E10044 1D12156A
	buffer_atomic_add_f32 v162, v8, s[32:35], 0 idxen offset:128// 000000009218: E1342080 8008A208
	v_mfma_f32_16x16x16_bf16 v[68:71], a[108:109], a[12:13], v[68:71]// 000000009220: D3E10044 1D12196C
	v_mfma_f32_16x16x16_bf16 v[68:71], a[110:111], a[14:15], v[68:71]// 000000009228: D3E10044 1D121D6E
	ds_read_b128 v[132:135], v14 offset:15232                  // 000000009230: D9FE3B80 8400000E
	ds_write_b32 v13, v38 offset:2176                          // 000000009238: D81A0880 0000260D
	v_mfma_f32_16x16x16_bf16 v[72:75], a[104:105], a[16:17], 0 // 000000009240: D3E10048 1A022168
	v_mfma_f32_16x16x16_bf16 v[72:75], a[106:107], a[18:19], v[72:75]// 000000009248: D3E10048 1D22256A
	buffer_atomic_add_f32 v163, v9, s[32:35], 0 idxen offset:128// 000000009250: E1342080 8008A309
	v_mfma_f32_16x16x16_bf16 v[72:75], a[108:109], a[20:21], v[72:75]// 000000009258: D3E10048 1D22296C
	ds_read_b128 v[136:139], v14 offset:15744                  // 000000009260: D9FE3D80 8800000E
	ds_write_b32 v13, v39 offset:3232                          // 000000009268: D81A0CA0 0000270D
	v_mfma_f32_16x16x16_bf16 v[72:75], a[110:111], a[22:23], v[72:75]// 000000009270: D3E10048 1D222D6E
	s_cmp_lt_i32 s83, 0xc0                                     // 000000009278: BF04FF53 000000C0
	s_cbranch_scc0 label_15B2                                  // 000000009280: BF84006D
	s_cmp_le_i32 s83, 64                                       // 000000009284: BF05C053
	s_cbranch_scc1 label_1545                                  // 000000009288: BF850007
	s_cmp_le_i32 s83, 0x80                                     // 00000000928C: BF05FF53 00000080
	s_cbranch_scc1 label_1569                                  // 000000009294: BF85001F
	s_cmp_lt_i32 s83, 0xc0                                     // 000000009298: BF04FF53 000000C0
	s_cbranch_scc1 label_158D                                  // 0000000092A0: BF850040
	s_branch label_15B2                                        // 0000000092A4: BF820064

00000000000092a8 <label_1545>:
	s_mov_b32 s60, 0                                           // 0000000092A8: BEBC0080
	v_and_b32_e32 v32, 15, v0                                  // 0000000092AC: 2640008F
	v_add_u32_e64 v32, v32, s60                                // 0000000092B0: D1340020 00007920
	v_mul_i32_i24_e64 v33, s46, 16                             // 0000000092B8: D1060021 0001202E
	v_add_u32_e32 v32, v32, v33                                // 0000000092C0: 68404320
	v_cmp_lt_u32_e64 s[60:61], v32, s83                        // 0000000092C4: D0C9003C 0000A720
	s_nop 1                                                    // 0000000092CC: BF800001
	v_cndmask_b32_e64 v52, v230, v52, s[60:61]                 // 0000000092D0: D1000034 00F269E6
	v_cndmask_b32_e64 v64, v230, v64, s[60:61]                 // 0000000092D8: D1000040 00F281E6
	v_cndmask_b32_e64 v53, v230, v53, s[60:61]                 // 0000000092E0: D1000035 00F26BE6
	v_cndmask_b32_e64 v65, v230, v65, s[60:61]                 // 0000000092E8: D1000041 00F283E6
	v_cndmask_b32_e64 v54, v230, v54, s[60:61]                 // 0000000092F0: D1000036 00F26DE6
	v_cndmask_b32_e64 v66, v230, v66, s[60:61]                 // 0000000092F8: D1000042 00F285E6
	v_cndmask_b32_e64 v55, v230, v55, s[60:61]                 // 000000009300: D1000037 00F26FE6
	v_cndmask_b32_e64 v67, v230, v67, s[60:61]                 // 000000009308: D1000043 00F287E6
	s_branch label_1584                                        // 000000009310: BF82001B

0000000000009314 <label_1569>:
	s_mov_b32 s60, 64                                          // 000000009314: BEBC00C0
	v_and_b32_e32 v32, 15, v0                                  // 000000009318: 2640008F
	v_add_u32_e64 v32, v32, s60                                // 00000000931C: D1340020 00007920
	v_mul_i32_i24_e64 v33, s46, 16                             // 000000009324: D1060021 0001202E
	v_add_u32_e32 v32, v32, v33                                // 00000000932C: 68404320
	v_cmp_lt_u32_e64 s[60:61], v32, s83                        // 000000009330: D0C9003C 0000A720
	s_nop 1                                                    // 000000009338: BF800001
	v_cndmask_b32_e64 v56, v230, v56, s[60:61]                 // 00000000933C: D1000038 00F271E6
	v_cndmask_b32_e64 v68, v230, v68, s[60:61]                 // 000000009344: D1000044 00F289E6
	v_cndmask_b32_e64 v57, v230, v57, s[60:61]                 // 00000000934C: D1000039 00F273E6
	v_cndmask_b32_e64 v69, v230, v69, s[60:61]                 // 000000009354: D1000045 00F28BE6
	v_cndmask_b32_e64 v58, v230, v58, s[60:61]                 // 00000000935C: D100003A 00F275E6
	v_cndmask_b32_e64 v70, v230, v70, s[60:61]                 // 000000009364: D1000046 00F28DE6
	v_cndmask_b32_e64 v59, v230, v59, s[60:61]                 // 00000000936C: D100003B 00F277E6
	v_cndmask_b32_e64 v71, v230, v71, s[60:61]                 // 000000009374: D1000047 00F28FE6
	s_branch label_15A9                                        // 00000000937C: BF820025

0000000000009380 <label_1584>:
	v_mov_b32_e32 v56, v230                                    // 000000009380: 7E7003E6
	v_mov_b32_e32 v68, v230                                    // 000000009384: 7E8803E6
	v_mov_b32_e32 v57, v230                                    // 000000009388: 7E7203E6
	v_mov_b32_e32 v69, v230                                    // 00000000938C: 7E8A03E6
	v_mov_b32_e32 v58, v230                                    // 000000009390: 7E7403E6
	v_mov_b32_e32 v70, v230                                    // 000000009394: 7E8C03E6
	v_mov_b32_e32 v59, v230                                    // 000000009398: 7E7603E6
	v_mov_b32_e32 v71, v230                                    // 00000000939C: 7E8E03E6
	s_branch label_15A9                                        // 0000000093A0: BF82001C

00000000000093a4 <label_158D>:
	s_mov_b32 s60, 0x80                                        // 0000000093A4: BEBC00FF 00000080
	v_and_b32_e32 v32, 15, v0                                  // 0000000093AC: 2640008F
	v_add_u32_e64 v32, v32, s60                                // 0000000093B0: D1340020 00007920
	v_mul_i32_i24_e64 v33, s46, 16                             // 0000000093B8: D1060021 0001202E
	v_add_u32_e32 v32, v32, v33                                // 0000000093C0: 68404320
	v_cmp_lt_u32_e64 s[60:61], v32, s83                        // 0000000093C4: D0C9003C 0000A720
	s_nop 1                                                    // 0000000093CC: BF800001
	v_cndmask_b32_e64 v60, v230, v60, s[60:61]                 // 0000000093D0: D100003C 00F279E6
	v_cndmask_b32_e64 v72, v230, v72, s[60:61]                 // 0000000093D8: D1000048 00F291E6
	v_cndmask_b32_e64 v61, v230, v61, s[60:61]                 // 0000000093E0: D100003D 00F27BE6
	v_cndmask_b32_e64 v73, v230, v73, s[60:61]                 // 0000000093E8: D1000049 00F293E6
	v_cndmask_b32_e64 v62, v230, v62, s[60:61]                 // 0000000093F0: D100003E 00F27DE6
	v_cndmask_b32_e64 v74, v230, v74, s[60:61]                 // 0000000093F8: D100004A 00F295E6
	v_cndmask_b32_e64 v63, v230, v63, s[60:61]                 // 000000009400: D100003F 00F27FE6
	v_cndmask_b32_e64 v75, v230, v75, s[60:61]                 // 000000009408: D100004B 00F297E6
	s_branch label_15B2                                        // 000000009410: BF820009

0000000000009414 <label_15A9>:
	v_mov_b32_e32 v60, v230                                    // 000000009414: 7E7803E6
	v_mov_b32_e32 v72, v230                                    // 000000009418: 7E9003E6
	v_mov_b32_e32 v61, v230                                    // 00000000941C: 7E7A03E6
	v_mov_b32_e32 v73, v230                                    // 000000009420: 7E9203E6
	v_mov_b32_e32 v62, v230                                    // 000000009424: 7E7C03E6
	v_mov_b32_e32 v74, v230                                    // 000000009428: 7E9403E6
	v_mov_b32_e32 v63, v230                                    // 00000000942C: 7E7E03E6
	v_mov_b32_e32 v75, v230                                    // 000000009430: 7E9603E6
	s_branch label_15B2                                        // 000000009434: BF820000

0000000000009438 <label_15B2>:
	s_waitcnt lgkmcnt(8)                                       // 000000009438: BF8CC87F
	s_barrier                                                  // 00000000943C: BF8A0000
	v_mfma_f32_16x16x16_bf16 v[76:79], v[108:109], a[72:73], 0 // 000000009440: D3E1004C 1202916C
	v_fma_f32 v52, v52, s57, -v140                             // 000000009448: D1CB0034 86307334
	v_fma_f32 v53, v53, s57, -v141                             // 000000009450: D1CB0035 86347335
	v_fma_f32 v54, v54, s57, -v142                             // 000000009458: D1CB0036 86387336
	v_fma_f32 v55, v55, s57, -v143                             // 000000009460: D1CB0037 863C7337
	v_fma_f32 v56, v56, s57, -v140                             // 000000009468: D1CB0038 86307338
	v_fma_f32 v57, v57, s57, -v141                             // 000000009470: D1CB0039 86347339
	v_mfma_f32_16x16x16_bf16 v[76:79], v[110:111], a[74:75], v[76:79]// 000000009478: D3E1004C 1532956E
	ds_read_b128 a[96:99], v14 offset:4352                     // 000000009480: DBFE1100 6000000E
	ds_read_b128 a[100:103], v14 offset:4864                   // 000000009488: DBFE1300 6400000E
	v_mfma_f32_16x16x16_bf16 v[76:79], v[112:113], a[76:77], v[76:79]// 000000009490: D3E1004C 15329970
	v_fma_f32 v58, v58, s57, -v142                             // 000000009498: D1CB003A 8638733A
	v_fma_f32 v59, v59, s57, -v143                             // 0000000094A0: D1CB003B 863C733B
	v_fma_f32 v60, v60, s57, -v140                             // 0000000094A8: D1CB003C 8630733C
	v_fma_f32 v61, v61, s57, -v141                             // 0000000094B0: D1CB003D 8634733D
	v_fma_f32 v62, v62, s57, -v142                             // 0000000094B8: D1CB003E 8638733E
	v_fma_f32 v63, v63, s57, -v143                             // 0000000094C0: D1CB003F 863C733F
	v_mfma_f32_16x16x16_bf16 v[76:79], v[114:115], a[78:79], v[76:79]// 0000000094C8: D3E1004C 15329D72
	v_fma_f32 v64, v64, s57, -v144                             // 0000000094D0: D1CB0040 86407340
	v_fma_f32 v65, v65, s57, -v145                             // 0000000094D8: D1CB0041 86447341
	v_fma_f32 v66, v66, s57, -v146                             // 0000000094E0: D1CB0042 86487342
	v_fma_f32 v67, v67, s57, -v147                             // 0000000094E8: D1CB0043 864C7343
	v_fma_f32 v68, v68, s57, -v144                             // 0000000094F0: D1CB0044 86407344
	v_fma_f32 v69, v69, s57, -v145                             // 0000000094F8: D1CB0045 86447345
	v_mfma_f32_16x16x16_bf16 v[80:83], v[108:109], a[80:81], 0 // 000000009500: D3E10050 1202A16C
	v_fma_f32 v70, v70, s57, -v146                             // 000000009508: D1CB0046 86487346
	v_fma_f32 v71, v71, s57, -v147                             // 000000009510: D1CB0047 864C7347
	v_fma_f32 v72, v72, s57, -v144                             // 000000009518: D1CB0048 86407348
	v_fma_f32 v73, v73, s57, -v145                             // 000000009520: D1CB0049 86447349
	v_fma_f32 v74, v74, s57, -v146                             // 000000009528: D1CB004A 8648734A
	v_fma_f32 v75, v75, s57, -v147                             // 000000009530: D1CB004B 864C734B
	v_mfma_f32_16x16x16_bf16 v[80:83], v[110:111], a[82:83], v[80:83]// 000000009538: D3E10050 1542A56E
	ds_read_b128 a[104:107], v14 offset:6528                   // 000000009540: DBFE1980 6800000E
	ds_read_b128 a[108:111], v14 offset:7040                   // 000000009548: DBFE1B80 6C00000E
	v_mfma_f32_16x16x16_bf16 v[80:83], v[112:113], a[84:85], v[80:83]// 000000009550: D3E10050 1542A970
	v_exp_f32_e32 v52, v52                                     // 000000009558: 7E684134
	v_exp_f32_e32 v53, v53                                     // 00000000955C: 7E6A4135
	v_mfma_f32_16x16x16_bf16 v[80:83], v[114:115], a[86:87], v[80:83]// 000000009560: D3E10050 1542AD72
	v_exp_f32_e32 v54, v54                                     // 000000009568: 7E6C4136
	v_exp_f32_e32 v55, v55                                     // 00000000956C: 7E6E4137
	v_mfma_f32_16x16x16_bf16 v[84:87], v[108:109], a[88:89], 0 // 000000009570: D3E10054 1202B16C
	v_exp_f32_e32 v56, v56                                     // 000000009578: 7E704138
	v_exp_f32_e32 v57, v57                                     // 00000000957C: 7E724139
	v_mfma_f32_16x16x16_bf16 v[84:87], v[110:111], a[90:91], v[84:87]// 000000009580: D3E10054 1552B56E
	ds_read_b64 v[156:157], v21 offset:31232                   // 000000009588: D8EC7A00 9C000015
	ds_read_b64 v[158:159], v21 offset:33280                   // 000000009590: D8EC8200 9E000015
	v_mfma_f32_16x16x16_bf16 v[84:87], v[112:113], a[92:93], v[84:87]// 000000009598: D3E10054 1552B970
	v_exp_f32_e32 v58, v58                                     // 0000000095A0: 7E74413A
	v_exp_f32_e32 v59, v59                                     // 0000000095A4: 7E76413B
	v_mfma_f32_16x16x16_bf16 v[84:87], v[114:115], a[94:95], v[84:87]// 0000000095A8: D3E10054 1552BD72
	ds_read_b64 v[160:161], v21 offset:35328                   // 0000000095B0: D8EC8A00 A0000015
	ds_read_b64 v[162:163], v21 offset:37376                   // 0000000095B8: D8EC9200 A2000015
	v_mfma_f32_16x16x16_bf16 v[88:91], v[116:117], a[72:73], 0 // 0000000095C0: D3E10058 12029174
	v_exp_f32_e32 v60, v60                                     // 0000000095C8: 7E78413C
	v_exp_f32_e32 v61, v61                                     // 0000000095CC: 7E7A413D
	v_mfma_f32_16x16x16_bf16 v[88:91], v[118:119], a[74:75], v[88:91]// 0000000095D0: D3E10058 15629576
	v_exp_f32_e32 v62, v62                                     // 0000000095D8: 7E7C413E
	v_exp_f32_e32 v63, v63                                     // 0000000095DC: 7E7E413F
	v_mfma_f32_16x16x16_bf16 v[88:91], v[120:121], a[76:77], v[88:91]// 0000000095E0: D3E10058 15629978
	v_exp_f32_e32 v64, v64                                     // 0000000095E8: 7E804140
	v_exp_f32_e32 v65, v65                                     // 0000000095EC: 7E824141
	v_mfma_f32_16x16x16_bf16 v[88:91], v[122:123], a[78:79], v[88:91]// 0000000095F0: D3E10058 15629D7A
	v_exp_f32_e32 v66, v66                                     // 0000000095F8: 7E844142
	v_exp_f32_e32 v67, v67                                     // 0000000095FC: 7E864143
	v_mfma_f32_16x16x16_bf16 v[92:95], v[116:117], a[80:81], 0 // 000000009600: D3E1005C 1202A174
	v_exp_f32_e32 v68, v68                                     // 000000009608: 7E884144
	v_exp_f32_e32 v69, v69                                     // 00000000960C: 7E8A4145
	v_mfma_f32_16x16x16_bf16 v[92:95], v[118:119], a[82:83], v[92:95]// 000000009610: D3E1005C 1572A576
	v_exp_f32_e32 v70, v70                                     // 000000009618: 7E8C4146
	v_exp_f32_e32 v71, v71                                     // 00000000961C: 7E8E4147
	v_mfma_f32_16x16x16_bf16 v[92:95], v[120:121], a[84:85], v[92:95]// 000000009620: D3E1005C 1572A978
	v_exp_f32_e32 v72, v72                                     // 000000009628: 7E904148
	v_exp_f32_e32 v73, v73                                     // 00000000962C: 7E924149
	v_mfma_f32_16x16x16_bf16 v[92:95], v[122:123], a[86:87], v[92:95]// 000000009630: D3E1005C 1572AD7A
	v_exp_f32_e32 v74, v74                                     // 000000009638: 7E94414A
	v_exp_f32_e32 v75, v75                                     // 00000000963C: 7E96414B
	v_mfma_f32_16x16x16_bf16 v[96:99], v[116:117], a[88:89], 0 // 000000009640: D3E10060 1202B174
	v_cmp_u_f32_e64 s[74:75], v52, v52                         // 000000009648: D048004A 00026934
	v_bfe_u32 v226, v52, 16, 1                                 // 000000009650: D1C800E2 02052134
	v_add3_u32 v226, v52, v226, v229                           // 000000009658: D1FF00E2 0797C534
	v_cndmask_b32_e64 v32, v226, v228, s[74:75]                // 000000009660: D1000020 012BC9E2
	v_lshrrev_b32_e32 v32, 16, v32                             // 000000009668: 20404090
	v_cmp_u_f32_e64 s[74:75], v53, v53                         // 00000000966C: D048004A 00026B35
	v_bfe_u32 v226, v53, 16, 1                                 // 000000009674: D1C800E2 02052135
	v_add3_u32 v226, v53, v226, v229                           // 00000000967C: D1FF00E2 0797C535
	v_cndmask_b32_e64 v33, v226, v228, s[74:75]                // 000000009684: D1000021 012BC9E2
	v_and_or_b32 v164, v33, v227, v32                          // 00000000968C: D20100A4 0483C721
	v_cmp_u_f32_e64 s[74:75], v54, v54                         // 000000009694: D048004A 00026D36
	v_bfe_u32 v226, v54, 16, 1                                 // 00000000969C: D1C800E2 02052136
	v_add3_u32 v226, v54, v226, v229                           // 0000000096A4: D1FF00E2 0797C536
	v_cndmask_b32_e64 v32, v226, v228, s[74:75]                // 0000000096AC: D1000020 012BC9E2
	v_lshrrev_b32_e32 v32, 16, v32                             // 0000000096B4: 20404090
	v_cmp_u_f32_e64 s[74:75], v55, v55                         // 0000000096B8: D048004A 00026F37
	v_bfe_u32 v226, v55, 16, 1                                 // 0000000096C0: D1C800E2 02052137
	v_add3_u32 v226, v55, v226, v229                           // 0000000096C8: D1FF00E2 0797C537
	v_cndmask_b32_e64 v33, v226, v228, s[74:75]                // 0000000096D0: D1000021 012BC9E2
	v_and_or_b32 v165, v33, v227, v32                          // 0000000096D8: D20100A5 0483C721
	v_cmp_u_f32_e64 s[74:75], v56, v56                         // 0000000096E0: D048004A 00027138
	v_bfe_u32 v226, v56, 16, 1                                 // 0000000096E8: D1C800E2 02052138
	v_add3_u32 v226, v56, v226, v229                           // 0000000096F0: D1FF00E2 0797C538
	v_cndmask_b32_e64 v32, v226, v228, s[74:75]                // 0000000096F8: D1000020 012BC9E2
	v_lshrrev_b32_e32 v32, 16, v32                             // 000000009700: 20404090
	v_cmp_u_f32_e64 s[74:75], v57, v57                         // 000000009704: D048004A 00027339
	v_bfe_u32 v226, v57, 16, 1                                 // 00000000970C: D1C800E2 02052139
	v_add3_u32 v226, v57, v226, v229                           // 000000009714: D1FF00E2 0797C539
	v_cndmask_b32_e64 v33, v226, v228, s[74:75]                // 00000000971C: D1000021 012BC9E2
	v_and_or_b32 v166, v33, v227, v32                          // 000000009724: D20100A6 0483C721
	v_cmp_u_f32_e64 s[74:75], v58, v58                         // 00000000972C: D048004A 0002753A
	v_bfe_u32 v226, v58, 16, 1                                 // 000000009734: D1C800E2 0205213A
	v_add3_u32 v226, v58, v226, v229                           // 00000000973C: D1FF00E2 0797C53A
	v_cndmask_b32_e64 v32, v226, v228, s[74:75]                // 000000009744: D1000020 012BC9E2
	v_lshrrev_b32_e32 v32, 16, v32                             // 00000000974C: 20404090
	v_cmp_u_f32_e64 s[74:75], v59, v59                         // 000000009750: D048004A 0002773B
	v_bfe_u32 v226, v59, 16, 1                                 // 000000009758: D1C800E2 0205213B
	v_add3_u32 v226, v59, v226, v229                           // 000000009760: D1FF00E2 0797C53B
	v_cndmask_b32_e64 v33, v226, v228, s[74:75]                // 000000009768: D1000021 012BC9E2
	v_and_or_b32 v167, v33, v227, v32                          // 000000009770: D20100A7 0483C721
	v_cmp_u_f32_e64 s[74:75], v60, v60                         // 000000009778: D048004A 0002793C
	v_bfe_u32 v226, v60, 16, 1                                 // 000000009780: D1C800E2 0205213C
	v_add3_u32 v226, v60, v226, v229                           // 000000009788: D1FF00E2 0797C53C
	v_cndmask_b32_e64 v32, v226, v228, s[74:75]                // 000000009790: D1000020 012BC9E2
	v_lshrrev_b32_e32 v32, 16, v32                             // 000000009798: 20404090
	v_cmp_u_f32_e64 s[74:75], v61, v61                         // 00000000979C: D048004A 00027B3D
	v_bfe_u32 v226, v61, 16, 1                                 // 0000000097A4: D1C800E2 0205213D
	v_add3_u32 v226, v61, v226, v229                           // 0000000097AC: D1FF00E2 0797C53D
	v_cndmask_b32_e64 v33, v226, v228, s[74:75]                // 0000000097B4: D1000021 012BC9E2
	v_and_or_b32 v168, v33, v227, v32                          // 0000000097BC: D20100A8 0483C721
	v_cmp_u_f32_e64 s[74:75], v62, v62                         // 0000000097C4: D048004A 00027D3E
	v_bfe_u32 v226, v62, 16, 1                                 // 0000000097CC: D1C800E2 0205213E
	v_add3_u32 v226, v62, v226, v229                           // 0000000097D4: D1FF00E2 0797C53E
	v_cndmask_b32_e64 v32, v226, v228, s[74:75]                // 0000000097DC: D1000020 012BC9E2
	v_lshrrev_b32_e32 v32, 16, v32                             // 0000000097E4: 20404090
	v_cmp_u_f32_e64 s[74:75], v63, v63                         // 0000000097E8: D048004A 00027F3F
	v_bfe_u32 v226, v63, 16, 1                                 // 0000000097F0: D1C800E2 0205213F
	v_add3_u32 v226, v63, v226, v229                           // 0000000097F8: D1FF00E2 0797C53F
	v_cndmask_b32_e64 v33, v226, v228, s[74:75]                // 000000009800: D1000021 012BC9E2
	v_and_or_b32 v169, v33, v227, v32                          // 000000009808: D20100A9 0483C721
	v_mfma_f32_16x16x16_bf16 v[96:99], v[118:119], a[90:91], v[96:99]// 000000009810: D3E10060 1582B576
	v_cmp_u_f32_e64 s[74:75], v64, v64                         // 000000009818: D048004A 00028140
	v_bfe_u32 v226, v64, 16, 1                                 // 000000009820: D1C800E2 02052140
	v_add3_u32 v226, v64, v226, v229                           // 000000009828: D1FF00E2 0797C540
	v_cndmask_b32_e64 v32, v226, v228, s[74:75]                // 000000009830: D1000020 012BC9E2
	v_lshrrev_b32_e32 v32, 16, v32                             // 000000009838: 20404090
	v_cmp_u_f32_e64 s[74:75], v65, v65                         // 00000000983C: D048004A 00028341
	v_bfe_u32 v226, v65, 16, 1                                 // 000000009844: D1C800E2 02052141
	v_add3_u32 v226, v65, v226, v229                           // 00000000984C: D1FF00E2 0797C541
	v_cndmask_b32_e64 v33, v226, v228, s[74:75]                // 000000009854: D1000021 012BC9E2
	v_and_or_b32 v170, v33, v227, v32                          // 00000000985C: D20100AA 0483C721
	v_cmp_u_f32_e64 s[74:75], v66, v66                         // 000000009864: D048004A 00028542
	v_bfe_u32 v226, v66, 16, 1                                 // 00000000986C: D1C800E2 02052142
	v_add3_u32 v226, v66, v226, v229                           // 000000009874: D1FF00E2 0797C542
	v_cndmask_b32_e64 v32, v226, v228, s[74:75]                // 00000000987C: D1000020 012BC9E2
	v_lshrrev_b32_e32 v32, 16, v32                             // 000000009884: 20404090
	v_cmp_u_f32_e64 s[74:75], v67, v67                         // 000000009888: D048004A 00028743
	v_bfe_u32 v226, v67, 16, 1                                 // 000000009890: D1C800E2 02052143
	v_add3_u32 v226, v67, v226, v229                           // 000000009898: D1FF00E2 0797C543
	v_cndmask_b32_e64 v33, v226, v228, s[74:75]                // 0000000098A0: D1000021 012BC9E2
	v_and_or_b32 v171, v33, v227, v32                          // 0000000098A8: D20100AB 0483C721
	v_cmp_u_f32_e64 s[74:75], v68, v68                         // 0000000098B0: D048004A 00028944
	v_bfe_u32 v226, v68, 16, 1                                 // 0000000098B8: D1C800E2 02052144
	v_add3_u32 v226, v68, v226, v229                           // 0000000098C0: D1FF00E2 0797C544
	v_cndmask_b32_e64 v32, v226, v228, s[74:75]                // 0000000098C8: D1000020 012BC9E2
	v_lshrrev_b32_e32 v32, 16, v32                             // 0000000098D0: 20404090
	v_cmp_u_f32_e64 s[74:75], v69, v69                         // 0000000098D4: D048004A 00028B45
	v_bfe_u32 v226, v69, 16, 1                                 // 0000000098DC: D1C800E2 02052145
	v_add3_u32 v226, v69, v226, v229                           // 0000000098E4: D1FF00E2 0797C545
	v_cndmask_b32_e64 v33, v226, v228, s[74:75]                // 0000000098EC: D1000021 012BC9E2
	v_and_or_b32 v172, v33, v227, v32                          // 0000000098F4: D20100AC 0483C721
	v_cmp_u_f32_e64 s[74:75], v70, v70                         // 0000000098FC: D048004A 00028D46
	v_bfe_u32 v226, v70, 16, 1                                 // 000000009904: D1C800E2 02052146
	v_add3_u32 v226, v70, v226, v229                           // 00000000990C: D1FF00E2 0797C546
	v_cndmask_b32_e64 v32, v226, v228, s[74:75]                // 000000009914: D1000020 012BC9E2
	v_lshrrev_b32_e32 v32, 16, v32                             // 00000000991C: 20404090
	v_cmp_u_f32_e64 s[74:75], v71, v71                         // 000000009920: D048004A 00028F47
	v_bfe_u32 v226, v71, 16, 1                                 // 000000009928: D1C800E2 02052147
	v_add3_u32 v226, v71, v226, v229                           // 000000009930: D1FF00E2 0797C547
	v_cndmask_b32_e64 v33, v226, v228, s[74:75]                // 000000009938: D1000021 012BC9E2
	v_and_or_b32 v173, v33, v227, v32                          // 000000009940: D20100AD 0483C721
	v_cmp_u_f32_e64 s[74:75], v72, v72                         // 000000009948: D048004A 00029148
	v_bfe_u32 v226, v72, 16, 1                                 // 000000009950: D1C800E2 02052148
	v_add3_u32 v226, v72, v226, v229                           // 000000009958: D1FF00E2 0797C548
	v_cndmask_b32_e64 v32, v226, v228, s[74:75]                // 000000009960: D1000020 012BC9E2
	v_lshrrev_b32_e32 v32, 16, v32                             // 000000009968: 20404090
	v_cmp_u_f32_e64 s[74:75], v73, v73                         // 00000000996C: D048004A 00029349
	v_bfe_u32 v226, v73, 16, 1                                 // 000000009974: D1C800E2 02052149
	v_add3_u32 v226, v73, v226, v229                           // 00000000997C: D1FF00E2 0797C549
	v_cndmask_b32_e64 v33, v226, v228, s[74:75]                // 000000009984: D1000021 012BC9E2
	v_and_or_b32 v174, v33, v227, v32                          // 00000000998C: D20100AE 0483C721
	v_cmp_u_f32_e64 s[74:75], v74, v74                         // 000000009994: D048004A 0002954A
	v_bfe_u32 v226, v74, 16, 1                                 // 00000000999C: D1C800E2 0205214A
	v_add3_u32 v226, v74, v226, v229                           // 0000000099A4: D1FF00E2 0797C54A
	v_cndmask_b32_e64 v32, v226, v228, s[74:75]                // 0000000099AC: D1000020 012BC9E2
	v_lshrrev_b32_e32 v32, 16, v32                             // 0000000099B4: 20404090
	v_cmp_u_f32_e64 s[74:75], v75, v75                         // 0000000099B8: D048004A 0002974B
	v_bfe_u32 v226, v75, 16, 1                                 // 0000000099C0: D1C800E2 0205214B
	v_add3_u32 v226, v75, v226, v229                           // 0000000099C8: D1FF00E2 0797C54B
	v_cndmask_b32_e64 v33, v226, v228, s[74:75]                // 0000000099D0: D1000021 012BC9E2
	v_and_or_b32 v175, v33, v227, v32                          // 0000000099D8: D20100AF 0483C721
	v_mfma_f32_16x16x16_bf16 v[96:99], v[120:121], a[92:93], v[96:99]// 0000000099E0: D3E10060 1582B978
	v_add_u32_e32 v6, s66, v6                                  // 0000000099E8: 680C0C42
	v_add_u32_e32 v7, s66, v7                                  // 0000000099EC: 680E0E42
	v_add_u32_e32 v8, s66, v8                                  // 0000000099F0: 68101042
	v_add_u32_e32 v9, s66, v9                                  // 0000000099F4: 68121242
	v_mfma_f32_16x16x16_bf16 v[96:99], v[122:123], a[94:95], v[96:99]// 0000000099F8: D3E10060 1582BD7A
	s_waitcnt lgkmcnt(0)                                       // 000000009A00: BF8CC07F
	s_barrier                                                  // 000000009A04: BF8A0000
	v_mfma_f32_16x16x16_bf16 v[178:181], v[124:125], v[164:165], v[178:181]// 000000009A08: D3E100B2 06CB497C
	v_subrev_f32_dpp v76, v176, v76 quad_perm:[0,0,0,0] row_mask:0xf bank_mask:0xf// 000000009A10: 069898FA FF0000B0
	v_subrev_f32_dpp v77, v176, v77 quad_perm:[1,1,1,1] row_mask:0xf bank_mask:0xf// 000000009A18: 069A9AFA FF0055B0
	v_subrev_f32_dpp v78, v176, v78 quad_perm:[2,2,2,2] row_mask:0xf bank_mask:0xf// 000000009A20: 069C9CFA FF00AAB0
	v_subrev_f32_dpp v79, v176, v79 quad_perm:[3,3,3,3] row_mask:0xf bank_mask:0xf// 000000009A28: 069E9EFA FF00FFB0
	v_subrev_f32_dpp v80, v176, v80 quad_perm:[0,0,0,0] row_mask:0xf bank_mask:0xf// 000000009A30: 06A0A0FA FF0000B0
	v_subrev_f32_dpp v81, v176, v81 quad_perm:[1,1,1,1] row_mask:0xf bank_mask:0xf// 000000009A38: 06A2A2FA FF0055B0
	v_mfma_f32_16x16x16_bf16 v[182:185], v[126:127], v[164:165], v[182:185]// 000000009A40: D3E100B6 06DB497E
	v_subrev_f32_dpp v82, v176, v82 quad_perm:[2,2,2,2] row_mask:0xf bank_mask:0xf// 000000009A48: 06A4A4FA FF00AAB0
	v_subrev_f32_dpp v83, v176, v83 quad_perm:[3,3,3,3] row_mask:0xf bank_mask:0xf// 000000009A50: 06A6A6FA FF00FFB0
	v_subrev_f32_dpp v84, v176, v84 quad_perm:[0,0,0,0] row_mask:0xf bank_mask:0xf// 000000009A58: 06A8A8FA FF0000B0
	v_subrev_f32_dpp v85, v176, v85 quad_perm:[1,1,1,1] row_mask:0xf bank_mask:0xf// 000000009A60: 06AAAAFA FF0055B0
	v_subrev_f32_dpp v86, v176, v86 quad_perm:[2,2,2,2] row_mask:0xf bank_mask:0xf// 000000009A68: 06ACACFA FF00AAB0
	v_subrev_f32_dpp v87, v176, v87 quad_perm:[3,3,3,3] row_mask:0xf bank_mask:0xf// 000000009A70: 06AEAEFA FF00FFB0
	v_mfma_f32_16x16x16_bf16 v[186:189], v[128:129], v[164:165], v[186:189]// 000000009A78: D3E100BA 06EB4980
	v_mul_f32_e32 v76, v52, v76                                // 000000009A80: 0A989934
	v_mul_f32_e32 v77, v53, v77                                // 000000009A84: 0A9A9B35
	v_mul_f32_e32 v78, v54, v78                                // 000000009A88: 0A9C9D36
	v_mul_f32_e32 v79, v55, v79                                // 000000009A8C: 0A9E9F37
	v_mul_f32_e32 v80, v56, v80                                // 000000009A90: 0AA0A138
	v_mul_f32_e32 v81, v57, v81                                // 000000009A94: 0AA2A339
	v_mfma_f32_16x16x16_bf16 v[190:193], v[130:131], v[164:165], v[190:193]// 000000009A98: D3E100BE 06FB4982
	v_mul_f32_e32 v82, v58, v82                                // 000000009AA0: 0AA4A53A
	v_mul_f32_e32 v83, v59, v83                                // 000000009AA4: 0AA6A73B
	v_mul_f32_e32 v84, v60, v84                                // 000000009AA8: 0AA8A93C
	v_mul_f32_e32 v85, v61, v85                                // 000000009AAC: 0AAAAB3D
	v_mul_f32_e32 v86, v62, v86                                // 000000009AB0: 0AACAD3E
	v_mul_f32_e32 v87, v63, v87                                // 000000009AB4: 0AAEAF3F
	v_mfma_f32_16x16x16_bf16 v[194:197], v[124:125], v[166:167], v[194:197]// 000000009AB8: D3E100C2 070B4D7C
	v_cmp_u_f32_e64 s[74:75], v76, v76                         // 000000009AC0: D048004A 0002994C
	v_bfe_u32 v226, v76, 16, 1                                 // 000000009AC8: D1C800E2 0205214C
	v_add3_u32 v226, v76, v226, v229                           // 000000009AD0: D1FF00E2 0797C54C
	v_cndmask_b32_e64 v32, v226, v228, s[74:75]                // 000000009AD8: D1000020 012BC9E2
	v_lshrrev_b32_e32 v32, 16, v32                             // 000000009AE0: 20404090
	v_cmp_u_f32_e64 s[74:75], v77, v77                         // 000000009AE4: D048004A 00029B4D
	v_bfe_u32 v226, v77, 16, 1                                 // 000000009AEC: D1C800E2 0205214D
	v_add3_u32 v226, v77, v226, v229                           // 000000009AF4: D1FF00E2 0797C54D
	v_cndmask_b32_e64 v33, v226, v228, s[74:75]                // 000000009AFC: D1000021 012BC9E2
	v_and_or_b32 v76, v33, v227, v32                           // 000000009B04: D201004C 0483C721
	v_cmp_u_f32_e64 s[74:75], v78, v78                         // 000000009B0C: D048004A 00029D4E
	v_bfe_u32 v226, v78, 16, 1                                 // 000000009B14: D1C800E2 0205214E
	v_add3_u32 v226, v78, v226, v229                           // 000000009B1C: D1FF00E2 0797C54E
	v_cndmask_b32_e64 v32, v226, v228, s[74:75]                // 000000009B24: D1000020 012BC9E2
	v_lshrrev_b32_e32 v32, 16, v32                             // 000000009B2C: 20404090
	v_cmp_u_f32_e64 s[74:75], v79, v79                         // 000000009B30: D048004A 00029F4F
	v_bfe_u32 v226, v79, 16, 1                                 // 000000009B38: D1C800E2 0205214F
	v_add3_u32 v226, v79, v226, v229                           // 000000009B40: D1FF00E2 0797C54F
	v_cndmask_b32_e64 v33, v226, v228, s[74:75]                // 000000009B48: D1000021 012BC9E2
	v_and_or_b32 v77, v33, v227, v32                           // 000000009B50: D201004D 0483C721
	v_cmp_u_f32_e64 s[74:75], v80, v80                         // 000000009B58: D048004A 0002A150
	v_bfe_u32 v226, v80, 16, 1                                 // 000000009B60: D1C800E2 02052150
	v_add3_u32 v226, v80, v226, v229                           // 000000009B68: D1FF00E2 0797C550
	v_cndmask_b32_e64 v32, v226, v228, s[74:75]                // 000000009B70: D1000020 012BC9E2
	v_lshrrev_b32_e32 v32, 16, v32                             // 000000009B78: 20404090
	v_cmp_u_f32_e64 s[74:75], v81, v81                         // 000000009B7C: D048004A 0002A351
	v_bfe_u32 v226, v81, 16, 1                                 // 000000009B84: D1C800E2 02052151
	v_add3_u32 v226, v81, v226, v229                           // 000000009B8C: D1FF00E2 0797C551
	v_cndmask_b32_e64 v33, v226, v228, s[74:75]                // 000000009B94: D1000021 012BC9E2
	v_and_or_b32 v78, v33, v227, v32                           // 000000009B9C: D201004E 0483C721
	v_cmp_u_f32_e64 s[74:75], v82, v82                         // 000000009BA4: D048004A 0002A552
	v_bfe_u32 v226, v82, 16, 1                                 // 000000009BAC: D1C800E2 02052152
	v_add3_u32 v226, v82, v226, v229                           // 000000009BB4: D1FF00E2 0797C552
	v_cndmask_b32_e64 v32, v226, v228, s[74:75]                // 000000009BBC: D1000020 012BC9E2
	v_lshrrev_b32_e32 v32, 16, v32                             // 000000009BC4: 20404090
	v_cmp_u_f32_e64 s[74:75], v83, v83                         // 000000009BC8: D048004A 0002A753
	v_bfe_u32 v226, v83, 16, 1                                 // 000000009BD0: D1C800E2 02052153
	v_add3_u32 v226, v83, v226, v229                           // 000000009BD8: D1FF00E2 0797C553
	v_cndmask_b32_e64 v33, v226, v228, s[74:75]                // 000000009BE0: D1000021 012BC9E2
	v_and_or_b32 v79, v33, v227, v32                           // 000000009BE8: D201004F 0483C721
	v_cmp_u_f32_e64 s[74:75], v84, v84                         // 000000009BF0: D048004A 0002A954
	v_bfe_u32 v226, v84, 16, 1                                 // 000000009BF8: D1C800E2 02052154
	v_add3_u32 v226, v84, v226, v229                           // 000000009C00: D1FF00E2 0797C554
	v_cndmask_b32_e64 v32, v226, v228, s[74:75]                // 000000009C08: D1000020 012BC9E2
	v_lshrrev_b32_e32 v32, 16, v32                             // 000000009C10: 20404090
	v_cmp_u_f32_e64 s[74:75], v85, v85                         // 000000009C14: D048004A 0002AB55
	v_bfe_u32 v226, v85, 16, 1                                 // 000000009C1C: D1C800E2 02052155
	v_add3_u32 v226, v85, v226, v229                           // 000000009C24: D1FF00E2 0797C555
	v_cndmask_b32_e64 v33, v226, v228, s[74:75]                // 000000009C2C: D1000021 012BC9E2
	v_and_or_b32 v80, v33, v227, v32                           // 000000009C34: D2010050 0483C721
	v_cmp_u_f32_e64 s[74:75], v86, v86                         // 000000009C3C: D048004A 0002AD56
	v_bfe_u32 v226, v86, 16, 1                                 // 000000009C44: D1C800E2 02052156
	v_add3_u32 v226, v86, v226, v229                           // 000000009C4C: D1FF00E2 0797C556
	v_cndmask_b32_e64 v32, v226, v228, s[74:75]                // 000000009C54: D1000020 012BC9E2
	v_lshrrev_b32_e32 v32, 16, v32                             // 000000009C5C: 20404090
	v_cmp_u_f32_e64 s[74:75], v87, v87                         // 000000009C60: D048004A 0002AF57
	v_bfe_u32 v226, v87, 16, 1                                 // 000000009C68: D1C800E2 02052157
	v_add3_u32 v226, v87, v226, v229                           // 000000009C70: D1FF00E2 0797C557
	v_cndmask_b32_e64 v33, v226, v228, s[74:75]                // 000000009C78: D1000021 012BC9E2
	v_and_or_b32 v81, v33, v227, v32                           // 000000009C80: D2010051 0483C721
	v_mfma_f32_16x16x16_bf16 v[198:201], v[126:127], v[166:167], v[198:201]// 000000009C88: D3E100C6 071B4D7E
	v_mov_b32_dpp v18, v76 quad_perm:[1,0,3,2] row_mask:0xf bank_mask:0xf// 000000009C90: 7E2402FA FF00B14C
	v_perm_b32 v52, v18, v76, v17                              // 000000009C98: D1ED0034 04469912
	v_mov_b32_dpp v18, v77 quad_perm:[1,0,3,2] row_mask:0xf bank_mask:0xf// 000000009CA0: 7E2402FA FF00B14D
	v_perm_b32 v53, v18, v77, v17                              // 000000009CA8: D1ED0035 04469B12
	v_mov_b32_dpp v18, v78 quad_perm:[1,0,3,2] row_mask:0xf bank_mask:0xf// 000000009CB0: 7E2402FA FF00B14E
	v_perm_b32 v54, v18, v78, v17                              // 000000009CB8: D1ED0036 04469D12
	v_mfma_f32_16x16x16_bf16 v[202:205], v[128:129], v[166:167], v[202:205]// 000000009CC0: D3E100CA 072B4D80
	ds_write_b32 v20, v52 offset:17408                         // 000000009CC8: D81A4400 00003414
	ds_write_b32 v20, v53 offset:17952                         // 000000009CD0: D81A4620 00003514
	v_mfma_f32_16x16x16_bf16 v[206:209], v[130:131], v[166:167], v[206:209]// 000000009CD8: D3E100CE 073B4D82
	v_mov_b32_dpp v18, v79 quad_perm:[1,0,3,2] row_mask:0xf bank_mask:0xf// 000000009CE0: 7E2402FA FF00B14F
	v_perm_b32 v55, v18, v79, v17                              // 000000009CE8: D1ED0037 04469F12
	v_mov_b32_dpp v18, v80 quad_perm:[1,0,3,2] row_mask:0xf bank_mask:0xf// 000000009CF0: 7E2402FA FF00B150
	v_perm_b32 v56, v18, v80, v17                              // 000000009CF8: D1ED0038 0446A112
	v_mov_b32_dpp v18, v81 quad_perm:[1,0,3,2] row_mask:0xf bank_mask:0xf// 000000009D00: 7E2402FA FF00B151
	v_perm_b32 v57, v18, v81, v17                              // 000000009D08: D1ED0039 0446A312
	v_mfma_f32_16x16x16_bf16 v[210:213], v[124:125], v[168:169], v[210:213]// 000000009D10: D3E100D2 074B517C
	ds_write_b32 v20, v54 offset:19712                         // 000000009D18: D81A4D00 00003614
	ds_write_b32 v20, v55 offset:20256                         // 000000009D20: D81A4F20 00003714
	v_mfma_f32_16x16x16_bf16 v[214:217], v[126:127], v[168:169], v[214:217]// 000000009D28: D3E100D6 075B517E
	v_subrev_f32_dpp v88, v177, v88 quad_perm:[0,0,0,0] row_mask:0xf bank_mask:0xf// 000000009D30: 06B0B0FA FF0000B1
	v_subrev_f32_dpp v89, v177, v89 quad_perm:[1,1,1,1] row_mask:0xf bank_mask:0xf// 000000009D38: 06B2B2FA FF0055B1
	v_subrev_f32_dpp v90, v177, v90 quad_perm:[2,2,2,2] row_mask:0xf bank_mask:0xf// 000000009D40: 06B4B4FA FF00AAB1
	v_subrev_f32_dpp v91, v177, v91 quad_perm:[3,3,3,3] row_mask:0xf bank_mask:0xf// 000000009D48: 06B6B6FA FF00FFB1
	v_subrev_f32_dpp v92, v177, v92 quad_perm:[0,0,0,0] row_mask:0xf bank_mask:0xf// 000000009D50: 06B8B8FA FF0000B1
	v_subrev_f32_dpp v93, v177, v93 quad_perm:[1,1,1,1] row_mask:0xf bank_mask:0xf// 000000009D58: 06BABAFA FF0055B1
	v_mfma_f32_16x16x16_bf16 v[218:221], v[128:129], v[168:169], v[218:221]// 000000009D60: D3E100DA 076B5180
	ds_write_b32 v20, v56 offset:22016                         // 000000009D68: D81A5600 00003814
	ds_write_b32 v20, v57 offset:22560                         // 000000009D70: D81A5820 00003914
	v_mfma_f32_16x16x16_bf16 v[222:225], v[130:131], v[168:169], v[222:225]// 000000009D78: D3E100DE 077B5182
	v_subrev_f32_dpp v94, v177, v94 quad_perm:[2,2,2,2] row_mask:0xf bank_mask:0xf// 000000009D80: 06BCBCFA FF00AAB1
	v_subrev_f32_dpp v95, v177, v95 quad_perm:[3,3,3,3] row_mask:0xf bank_mask:0xf// 000000009D88: 06BEBEFA FF00FFB1
	v_subrev_f32_dpp v96, v177, v96 quad_perm:[0,0,0,0] row_mask:0xf bank_mask:0xf// 000000009D90: 06C0C0FA FF0000B1
	v_subrev_f32_dpp v97, v177, v97 quad_perm:[1,1,1,1] row_mask:0xf bank_mask:0xf// 000000009D98: 06C2C2FA FF0055B1
	v_subrev_f32_dpp v98, v177, v98 quad_perm:[2,2,2,2] row_mask:0xf bank_mask:0xf// 000000009DA0: 06C4C4FA FF00AAB1
	v_subrev_f32_dpp v99, v177, v99 quad_perm:[3,3,3,3] row_mask:0xf bank_mask:0xf// 000000009DA8: 06C6C6FA FF00FFB1
	v_mfma_f32_16x16x16_bf16 v[178:181], v[132:133], v[170:171], v[178:181]// 000000009DB0: D3E100B2 06CB5584
	v_mul_f32_e32 v88, v64, v88                                // 000000009DB8: 0AB0B140
	v_mul_f32_e32 v89, v65, v89                                // 000000009DBC: 0AB2B341
	v_mul_f32_e32 v90, v66, v90                                // 000000009DC0: 0AB4B542
	v_mul_f32_e32 v91, v67, v91                                // 000000009DC4: 0AB6B743
	v_mul_f32_e32 v92, v68, v92                                // 000000009DC8: 0AB8B944
	v_mul_f32_e32 v93, v69, v93                                // 000000009DCC: 0ABABB45
	v_mfma_f32_16x16x16_bf16 v[182:185], v[134:135], v[170:171], v[182:185]// 000000009DD0: D3E100B6 06DB5586
	v_mul_f32_e32 v94, v70, v94                                // 000000009DD8: 0ABCBD46
	v_mul_f32_e32 v95, v71, v95                                // 000000009DDC: 0ABEBF47
	v_mul_f32_e32 v96, v72, v96                                // 000000009DE0: 0AC0C148
	v_mul_f32_e32 v97, v73, v97                                // 000000009DE4: 0AC2C349
	v_mul_f32_e32 v98, v74, v98                                // 000000009DE8: 0AC4C54A
	v_mul_f32_e32 v99, v75, v99                                // 000000009DEC: 0AC6C74B
	v_mfma_f32_16x16x16_bf16 v[186:189], v[136:137], v[170:171], v[186:189]// 000000009DF0: D3E100BA 06EB5588
	v_cmp_u_f32_e64 s[74:75], v88, v88                         // 000000009DF8: D048004A 0002B158
	v_bfe_u32 v226, v88, 16, 1                                 // 000000009E00: D1C800E2 02052158
	v_add3_u32 v226, v88, v226, v229                           // 000000009E08: D1FF00E2 0797C558
	v_cndmask_b32_e64 v32, v226, v228, s[74:75]                // 000000009E10: D1000020 012BC9E2
	v_lshrrev_b32_e32 v32, 16, v32                             // 000000009E18: 20404090
	v_cmp_u_f32_e64 s[74:75], v89, v89                         // 000000009E1C: D048004A 0002B359
	v_bfe_u32 v226, v89, 16, 1                                 // 000000009E24: D1C800E2 02052159
	v_add3_u32 v226, v89, v226, v229                           // 000000009E2C: D1FF00E2 0797C559
	v_cndmask_b32_e64 v33, v226, v228, s[74:75]                // 000000009E34: D1000021 012BC9E2
	v_and_or_b32 v82, v33, v227, v32                           // 000000009E3C: D2010052 0483C721
	v_cmp_u_f32_e64 s[74:75], v90, v90                         // 000000009E44: D048004A 0002B55A
	v_bfe_u32 v226, v90, 16, 1                                 // 000000009E4C: D1C800E2 0205215A
	v_add3_u32 v226, v90, v226, v229                           // 000000009E54: D1FF00E2 0797C55A
	v_cndmask_b32_e64 v32, v226, v228, s[74:75]                // 000000009E5C: D1000020 012BC9E2
	v_lshrrev_b32_e32 v32, 16, v32                             // 000000009E64: 20404090
	v_cmp_u_f32_e64 s[74:75], v91, v91                         // 000000009E68: D048004A 0002B75B
	v_bfe_u32 v226, v91, 16, 1                                 // 000000009E70: D1C800E2 0205215B
	v_add3_u32 v226, v91, v226, v229                           // 000000009E78: D1FF00E2 0797C55B
	v_cndmask_b32_e64 v33, v226, v228, s[74:75]                // 000000009E80: D1000021 012BC9E2
	v_and_or_b32 v83, v33, v227, v32                           // 000000009E88: D2010053 0483C721
	v_cmp_u_f32_e64 s[74:75], v92, v92                         // 000000009E90: D048004A 0002B95C
	v_bfe_u32 v226, v92, 16, 1                                 // 000000009E98: D1C800E2 0205215C
	v_add3_u32 v226, v92, v226, v229                           // 000000009EA0: D1FF00E2 0797C55C
	v_cndmask_b32_e64 v32, v226, v228, s[74:75]                // 000000009EA8: D1000020 012BC9E2
	v_lshrrev_b32_e32 v32, 16, v32                             // 000000009EB0: 20404090
	v_cmp_u_f32_e64 s[74:75], v93, v93                         // 000000009EB4: D048004A 0002BB5D
	v_bfe_u32 v226, v93, 16, 1                                 // 000000009EBC: D1C800E2 0205215D
	v_add3_u32 v226, v93, v226, v229                           // 000000009EC4: D1FF00E2 0797C55D
	v_cndmask_b32_e64 v33, v226, v228, s[74:75]                // 000000009ECC: D1000021 012BC9E2
	v_and_or_b32 v84, v33, v227, v32                           // 000000009ED4: D2010054 0483C721
	v_cmp_u_f32_e64 s[74:75], v94, v94                         // 000000009EDC: D048004A 0002BD5E
	v_bfe_u32 v226, v94, 16, 1                                 // 000000009EE4: D1C800E2 0205215E
	v_add3_u32 v226, v94, v226, v229                           // 000000009EEC: D1FF00E2 0797C55E
	v_cndmask_b32_e64 v32, v226, v228, s[74:75]                // 000000009EF4: D1000020 012BC9E2
	v_lshrrev_b32_e32 v32, 16, v32                             // 000000009EFC: 20404090
	v_cmp_u_f32_e64 s[74:75], v95, v95                         // 000000009F00: D048004A 0002BF5F
	v_bfe_u32 v226, v95, 16, 1                                 // 000000009F08: D1C800E2 0205215F
	v_add3_u32 v226, v95, v226, v229                           // 000000009F10: D1FF00E2 0797C55F
	v_cndmask_b32_e64 v33, v226, v228, s[74:75]                // 000000009F18: D1000021 012BC9E2
	v_and_or_b32 v85, v33, v227, v32                           // 000000009F20: D2010055 0483C721
	v_cmp_u_f32_e64 s[74:75], v96, v96                         // 000000009F28: D048004A 0002C160
	v_bfe_u32 v226, v96, 16, 1                                 // 000000009F30: D1C800E2 02052160
	v_add3_u32 v226, v96, v226, v229                           // 000000009F38: D1FF00E2 0797C560
	v_cndmask_b32_e64 v32, v226, v228, s[74:75]                // 000000009F40: D1000020 012BC9E2
	v_lshrrev_b32_e32 v32, 16, v32                             // 000000009F48: 20404090
	v_cmp_u_f32_e64 s[74:75], v97, v97                         // 000000009F4C: D048004A 0002C361
	v_bfe_u32 v226, v97, 16, 1                                 // 000000009F54: D1C800E2 02052161
	v_add3_u32 v226, v97, v226, v229                           // 000000009F5C: D1FF00E2 0797C561
	v_cndmask_b32_e64 v33, v226, v228, s[74:75]                // 000000009F64: D1000021 012BC9E2
	v_and_or_b32 v86, v33, v227, v32                           // 000000009F6C: D2010056 0483C721
	v_cmp_u_f32_e64 s[74:75], v98, v98                         // 000000009F74: D048004A 0002C562
	v_bfe_u32 v226, v98, 16, 1                                 // 000000009F7C: D1C800E2 02052162
	v_add3_u32 v226, v98, v226, v229                           // 000000009F84: D1FF00E2 0797C562
	v_cndmask_b32_e64 v32, v226, v228, s[74:75]                // 000000009F8C: D1000020 012BC9E2
	v_lshrrev_b32_e32 v32, 16, v32                             // 000000009F94: 20404090
	v_cmp_u_f32_e64 s[74:75], v99, v99                         // 000000009F98: D048004A 0002C763
	v_bfe_u32 v226, v99, 16, 1                                 // 000000009FA0: D1C800E2 02052163
	v_add3_u32 v226, v99, v226, v229                           // 000000009FA8: D1FF00E2 0797C563
	v_cndmask_b32_e64 v33, v226, v228, s[74:75]                // 000000009FB0: D1000021 012BC9E2
	v_and_or_b32 v87, v33, v227, v32                           // 000000009FB8: D2010057 0483C721
	v_mfma_f32_16x16x16_bf16 v[190:193], v[138:139], v[170:171], v[190:193]// 000000009FC0: D3E100BE 06FB558A
	v_mov_b32_dpp v18, v82 quad_perm:[1,0,3,2] row_mask:0xf bank_mask:0xf// 000000009FC8: 7E2402FA FF00B152
	v_perm_b32 v58, v18, v82, v17                              // 000000009FD0: D1ED003A 0446A512
	v_mov_b32_dpp v18, v83 quad_perm:[1,0,3,2] row_mask:0xf bank_mask:0xf// 000000009FD8: 7E2402FA FF00B153
	v_perm_b32 v59, v18, v83, v17                              // 000000009FE0: D1ED003B 0446A712
	v_mov_b32_dpp v18, v84 quad_perm:[1,0,3,2] row_mask:0xf bank_mask:0xf// 000000009FE8: 7E2402FA FF00B154
	v_perm_b32 v60, v18, v84, v17                              // 000000009FF0: D1ED003C 0446A912
	v_mfma_f32_16x16x16_bf16 v[194:197], v[132:133], v[172:173], v[194:197]// 000000009FF8: D3E100C2 070B5984
	ds_write_b32 v20, v58 offset:24320                         // 00000000A000: D81A5F00 00003A14
	ds_write_b32 v20, v59 offset:24864                         // 00000000A008: D81A6120 00003B14
	v_mfma_f32_16x16x16_bf16 v[198:201], v[134:135], v[172:173], v[198:201]// 00000000A010: D3E100C6 071B5986
	v_mov_b32_dpp v18, v85 quad_perm:[1,0,3,2] row_mask:0xf bank_mask:0xf// 00000000A018: 7E2402FA FF00B155
	v_perm_b32 v61, v18, v85, v17                              // 00000000A020: D1ED003D 0446AB12
	v_mov_b32_dpp v18, v86 quad_perm:[1,0,3,2] row_mask:0xf bank_mask:0xf// 00000000A028: 7E2402FA FF00B156
	v_perm_b32 v62, v18, v86, v17                              // 00000000A030: D1ED003E 0446AD12
	v_mov_b32_dpp v18, v87 quad_perm:[1,0,3,2] row_mask:0xf bank_mask:0xf// 00000000A038: 7E2402FA FF00B157
	v_perm_b32 v63, v18, v87, v17                              // 00000000A040: D1ED003F 0446AF12
	v_mfma_f32_16x16x16_bf16 v[202:205], v[136:137], v[172:173], v[202:205]// 00000000A048: D3E100CA 072B5988
	ds_write_b32 v20, v60 offset:26624                         // 00000000A050: D81A6800 00003C14
	ds_write_b32 v20, v61 offset:27168                         // 00000000A058: D81A6A20 00003D14
	ds_write_b32 v20, v62 offset:28928                         // 00000000A060: D81A7100 00003E14
	ds_write_b32 v20, v63 offset:29472                         // 00000000A068: D81A7320 00003F14
	v_mfma_f32_16x16x16_bf16 v[206:209], v[138:139], v[172:173], v[206:209]// 00000000A070: D3E100CE 073B598A
	v_mfma_f32_16x16x16_bf16 v[210:213], v[132:133], v[174:175], v[210:213]// 00000000A078: D3E100D2 074B5D84
	ds_write_b32 v15, v100 offset:4352                         // 00000000A080: D81A1100 0000640F
	ds_write_b32 v15, v101 offset:5408                         // 00000000A088: D81A1520 0000650F
	v_mfma_f32_16x16x16_bf16 v[214:217], v[134:135], v[174:175], v[214:217]// 00000000A090: D3E100D6 075B5D86
	v_mfma_f32_16x16x16_bf16 v[218:221], v[136:137], v[174:175], v[218:221]// 00000000A098: D3E100DA 076B5D88
	ds_write_b32 v15, v102 offset:6528                         // 00000000A0A0: D81A1980 0000660F
	ds_write_b32 v15, v103 offset:7584                         // 00000000A0A8: D81A1DA0 0000670F
	v_mfma_f32_16x16x16_bf16 v[222:225], v[138:139], v[174:175], v[222:225]// 00000000A0B0: D3E100DE 077B5D8A
	s_nop 0                                                    // 00000000A0B8: BF800000
	s_nop 0                                                    // 00000000A0BC: BF800000
	s_nop 0                                                    // 00000000A0C0: BF800000
	s_barrier                                                  // 00000000A0C4: BF8A0000
	v_mfma_f32_16x16x16_bf16 a[112:115], a[96:97], v[76:77], a[112:115]// 00000000A0C8: D3E18070 0DC29960
	ds_read_b32 v140, v23 offset:39424                         // 00000000A0D0: D86C9A00 8C000017
	ds_read_b32 v144, v23 offset:39488                         // 00000000A0D8: D86C9A40 90000017
	ds_read_b32 v176, v23 offset:39680                         // 00000000A0E0: D86C9B00 B0000017
	ds_read_b32 v177, v23 offset:39744                         // 00000000A0E8: D86C9B40 B1000017
	v_mfma_f32_16x16x16_bf16 a[116:119], a[98:99], v[76:77], a[116:119]// 00000000A0F0: D3E18074 0DD29962
	buffer_atomic_add_f32 v156, v6, s[32:35], 0 idxen          // 00000000A0F8: E1342000 80089C06
	v_mfma_f32_16x16x16_bf16 a[120:123], a[100:101], v[76:77], a[120:123]// 00000000A100: D3E18078 0DE29964
	s_waitcnt lgkmcnt(8)                                       // 00000000A108: BF8CC87F
	s_barrier                                                  // 00000000A10C: BF8A0000
	v_mfma_f32_16x16x16_bf16 a[124:127], a[102:103], v[76:77], a[124:127]// 00000000A110: D3E1807C 0DF29966
	v_mfma_f32_16x16x16_bf16 a[128:131], a[96:97], v[78:79], a[128:131]// 00000000A118: D3E18080 0E029D60
	ds_read_b128 v[52:55], v19 offset:17408                    // 00000000A120: D9FE4400 34000013
	v_mfma_f32_16x16x16_bf16 a[132:135], a[98:99], v[78:79], a[132:135]// 00000000A128: D3E18084 0E129D62
	v_mfma_f32_16x16x16_bf16 a[136:139], a[100:101], v[78:79], a[136:139]// 00000000A130: D3E18088 0E229D64
	ds_read_b128 v[56:59], v19 offset:18560                    // 00000000A138: D9FE4880 38000013
	v_mfma_f32_16x16x16_bf16 a[140:143], a[102:103], v[78:79], a[140:143]// 00000000A140: D3E1808C 0E329D66
	buffer_atomic_add_f32 v157, v7, s[32:35], 0 idxen          // 00000000A148: E1342000 80089D07
	v_mfma_f32_16x16x16_bf16 a[144:147], a[96:97], v[80:81], a[144:147]// 00000000A150: D3E18090 0E42A160
	ds_read_b128 v[60:63], v19 offset:19712                    // 00000000A158: D9FE4D00 3C000013
	v_mfma_f32_16x16x16_bf16 a[148:151], a[98:99], v[80:81], a[148:151]// 00000000A160: D3E18094 0E52A162
	v_mfma_f32_16x16x16_bf16 a[152:155], a[100:101], v[80:81], a[152:155]// 00000000A168: D3E18098 0E62A164
	ds_read_b128 v[64:67], v19 offset:20864                    // 00000000A170: D9FE5180 40000013
	v_mfma_f32_16x16x16_bf16 a[156:159], a[102:103], v[80:81], a[156:159]// 00000000A178: D3E1809C 0E72A166
	v_mfma_f32_16x16x16_bf16 a[112:115], a[104:105], v[82:83], a[112:115]// 00000000A180: D3E18070 0DC2A568
	ds_read_b128 v[68:71], v19 offset:22016                    // 00000000A188: D9FE5600 44000013
	v_mfma_f32_16x16x16_bf16 a[116:119], a[106:107], v[82:83], a[116:119]// 00000000A190: D3E18074 0DD2A56A
	buffer_atomic_add_f32 v158, v6, s[32:35], 0 idxen offset:128// 00000000A198: E1342080 80089E06
	v_mfma_f32_16x16x16_bf16 a[120:123], a[108:109], v[82:83], a[120:123]// 00000000A1A0: D3E18078 0DE2A56C
	ds_read_b128 v[72:75], v19 offset:23168                    // 00000000A1A8: D9FE5A80 48000013
	v_mfma_f32_16x16x16_bf16 a[124:127], a[110:111], v[82:83], a[124:127]// 00000000A1B0: D3E1807C 0DF2A56E
	v_mfma_f32_16x16x16_bf16 a[128:131], a[104:105], v[84:85], a[128:131]// 00000000A1B8: D3E18080 0E02A968
	ds_write_b32 v15, v104 offset:13056                        // 00000000A1C0: D81A3300 0000680F
	v_mfma_f32_16x16x16_bf16 a[132:135], a[106:107], v[84:85], a[132:135]// 00000000A1C8: D3E18084 0E12A96A
	v_mfma_f32_16x16x16_bf16 a[136:139], a[108:109], v[84:85], a[136:139]// 00000000A1D0: D3E18088 0E22A96C
	ds_write_b32 v15, v105 offset:14112                        // 00000000A1D8: D81A3720 0000690F
	v_mfma_f32_16x16x16_bf16 a[140:143], a[110:111], v[84:85], a[140:143]// 00000000A1E0: D3E1808C 0E32A96E
	buffer_atomic_add_f32 v159, v7, s[32:35], 0 idxen offset:128// 00000000A1E8: E1342080 80089F07
	v_mfma_f32_16x16x16_bf16 a[144:147], a[104:105], v[86:87], a[144:147]// 00000000A1F0: D3E18090 0E42AD68
	ds_write_b32 v15, v106 offset:15232                        // 00000000A1F8: D81A3B80 00006A0F
	v_mfma_f32_16x16x16_bf16 a[148:151], a[106:107], v[86:87], a[148:151]// 00000000A200: D3E18094 0E52AD6A
	v_mfma_f32_16x16x16_bf16 a[152:155], a[108:109], v[86:87], a[152:155]// 00000000A208: D3E18098 0E62AD6C
	ds_write_b32 v15, v107 offset:16288                        // 00000000A210: D81A3FA0 00006B0F
	v_mfma_f32_16x16x16_bf16 a[156:159], a[110:111], v[86:87], a[156:159]// 00000000A218: D3E1809C 0E72AD6E
	s_waitcnt vmcnt(8) lgkmcnt(4)                              // 00000000A220: BF8C0478
	s_barrier                                                  // 00000000A224: BF8A0000
	v_mfma_f32_16x16x16_bf16 v[148:151], v[52:53], a[24:25], 0 // 00000000A228: D3E10094 12023134
	ds_read_b128 a[96:99], v12                                 // 00000000A230: DBFE0000 6000000C
	buffer_load_dword v36, v1, s[8:11], 0 idxen                // 00000000A238: E0502000 80022401
	v_mfma_f32_16x16x16_bf16 v[148:151], v[54:55], a[28:29], v[148:151]// 00000000A240: D3E10094 16523936
	v_mul_f32_e32 v140, s48, v140                              // 00000000A248: 0B191830
	v_mul_f32_e32 v144, s48, v144                              // 00000000A24C: 0B212030
	s_nop 0                                                    // 00000000A250: BF800000
	v_mfma_f32_16x16x16_bf16 v[148:151], v[56:57], a[32:33], v[148:151]// 00000000A254: D3E10094 16524138
	ds_read_b128 a[100:103], v12 offset:512                    // 00000000A25C: DBFE0200 6400000C
	buffer_load_dword v37, v2, s[8:11], 0 idxen                // 00000000A264: E0502000 80022502
	v_mfma_f32_16x16x16_bf16 v[148:151], v[58:59], a[36:37], v[148:151]// 00000000A26C: D3E10094 1652493A
	v_mfma_f32_16x16x16_bf16 v[148:151], v[60:61], a[40:41], v[148:151]// 00000000A274: D3E10094 1652513C
	ds_read_b128 a[104:107], v12 offset:2176                   // 00000000A27C: DBFE0880 6800000C
	buffer_load_dword v38, v3, s[8:11], 0 idxen                // 00000000A284: E0502000 80022603
	v_mfma_f32_16x16x16_bf16 v[148:151], v[62:63], a[44:45], v[148:151]// 00000000A28C: D3E10094 1652593E
	v_perm_b32 v100, v41, v40, s63                             // 00000000A294: D1ED0064 00FE5129
	v_perm_b32 v101, v41, v40, s64                             // 00000000A29C: D1ED0065 01025129
	v_mfma_f32_16x16x16_bf16 v[148:151], v[64:65], a[48:49], v[148:151]// 00000000A2A4: D3E10094 16526140
	ds_read_b128 a[108:111], v12 offset:2688                   // 00000000A2AC: DBFE0A80 6C00000C
	buffer_load_dword v39, v4, s[8:11], 0 idxen                // 00000000A2B4: E0502000 80022704
	v_mfma_f32_16x16x16_bf16 v[148:151], v[66:67], a[52:53], v[148:151]// 00000000A2BC: D3E10094 16526942
	v_perm_b32 v102, v43, v42, s63                             // 00000000A2C4: D1ED0066 00FE552B
	v_perm_b32 v103, v43, v42, s64                             // 00000000A2CC: D1ED0067 0102552B
	v_mfma_f32_16x16x16_bf16 v[148:151], v[68:69], a[56:57], v[148:151]// 00000000A2D4: D3E10094 16527144
	ds_read_b128 v[108:111], v12 offset:8704                   // 00000000A2DC: D9FE2200 6C00000C
	buffer_load_dword v44, v231, s[20:23], 0 idxen             // 00000000A2E4: E0502000 80052CE7
	v_mfma_f32_16x16x16_bf16 v[148:151], v[70:71], a[60:61], v[148:151]// 00000000A2EC: D3E10094 16527946
	v_perm_b32 v104, v49, v48, s63                             // 00000000A2F4: D1ED0068 00FE6131
	v_perm_b32 v105, v49, v48, s64                             // 00000000A2FC: D1ED0069 01026131
	v_mfma_f32_16x16x16_bf16 v[148:151], v[72:73], a[64:65], v[148:151]// 00000000A304: D3E10094 16528148
	ds_read_b128 v[112:115], v12 offset:9216                   // 00000000A30C: D9FE2400 7000000C
	buffer_load_dword v45, v232, s[20:23], 0 idxen             // 00000000A314: E0502000 80052DE8
	v_mfma_f32_16x16x16_bf16 v[148:151], v[74:75], a[68:69], v[148:151]// 00000000A31C: D3E10094 1652894A
	v_perm_b32 v106, v51, v50, s63                             // 00000000A324: D1ED006A 00FE6533
	v_perm_b32 v107, v51, v50, s64                             // 00000000A32C: D1ED006B 01026533
	v_mfma_f32_16x16x16_bf16 v[152:155], v[52:53], a[26:27], 0 // 00000000A334: D3E10098 12023534
	ds_read_b128 v[116:119], v12 offset:10880                  // 00000000A33C: D9FE2A80 7400000C
	buffer_load_dword v46, v233, s[20:23], 0 idxen             // 00000000A344: E0502000 80052EE9
	v_mfma_f32_16x16x16_bf16 v[152:155], v[54:55], a[30:31], v[152:155]// 00000000A34C: D3E10098 16623D36
	v_mov_b32_dpp v143, v140 quad_perm:[3,3,3,3] row_mask:0xf bank_mask:0xf// 00000000A354: 7F1E02FA FF00FF8C
	v_mov_b32_dpp v142, v140 quad_perm:[2,2,2,2] row_mask:0xf bank_mask:0xf// 00000000A35C: 7F1C02FA FF00AA8C
	v_mov_b32_dpp v141, v140 quad_perm:[1,1,1,1] row_mask:0xf bank_mask:0xf// 00000000A364: 7F1A02FA FF00558C
	v_mov_b32_dpp v140, v140 quad_perm:[0,0,0,0] row_mask:0xf bank_mask:0xf// 00000000A36C: 7F1802FA FF00008C
	v_mfma_f32_16x16x16_bf16 v[152:155], v[56:57], a[34:35], v[152:155]// 00000000A374: D3E10098 16624538
	ds_read_b128 v[120:123], v12 offset:11392                  // 00000000A37C: D9FE2C80 7800000C
	buffer_load_dword v47, v234, s[20:23], 0 idxen             // 00000000A384: E0502000 80052FEA
	v_mfma_f32_16x16x16_bf16 v[152:155], v[58:59], a[38:39], v[152:155]// 00000000A38C: D3E10098 16624D3A
	v_mov_b32_dpp v147, v144 quad_perm:[3,3,3,3] row_mask:0xf bank_mask:0xf// 00000000A394: 7F2602FA FF00FF90
	v_mov_b32_dpp v146, v144 quad_perm:[2,2,2,2] row_mask:0xf bank_mask:0xf// 00000000A39C: 7F2402FA FF00AA90
	v_mov_b32_dpp v145, v144 quad_perm:[1,1,1,1] row_mask:0xf bank_mask:0xf// 00000000A3A4: 7F2202FA FF005590
	v_mov_b32_dpp v144, v144 quad_perm:[0,0,0,0] row_mask:0xf bank_mask:0xf// 00000000A3AC: 7F2002FA FF000090
	s_add_u32 s60, 0x80, s59                                   // 00000000A3B4: 803C3BFF 00000080
	v_mfma_f32_16x16x16_bf16 v[152:155], v[60:61], a[42:43], v[152:155]// 00000000A3BC: D3E10098 1662553C
	buffer_load_dword v11, s[24:27], 0 idxen lds               // 00000000A3C4: E0512000 8006000B
	v_mfma_f32_16x16x16_bf16 v[152:155], v[62:63], a[46:47], v[152:155]// 00000000A3CC: D3E10098 16625D3E
	s_cmp_lt_u32 s60, s58                                      // 00000000A3D4: BF0A3A3C
	s_cselect_b32 s68, s68, 0                                  // 00000000A3D8: 85448044
	s_cselect_b32 s81, s81, 0                                  // 00000000A3DC: 85518051
	s_cselect_b32 s69, s69, 0                                  // 00000000A3E0: 85458045
	v_mfma_f32_16x16x16_bf16 v[152:155], v[64:65], a[50:51], v[152:155]// 00000000A3E4: D3E10098 16626540
	v_add_u32_e32 v1, s68, v1                                  // 00000000A3EC: 68020244
	v_add_u32_e32 v2, s68, v2                                  // 00000000A3F0: 68040444
	v_add_u32_e32 v3, s68, v3                                  // 00000000A3F4: 68060644
	v_add_u32_e32 v4, s68, v4                                  // 00000000A3F8: 68080844
	v_mfma_f32_16x16x16_bf16 v[152:155], v[66:67], a[54:55], v[152:155]// 00000000A3FC: D3E10098 16626D42
	v_add_u32_e32 v231, s81, v231                              // 00000000A404: 69CFCE51
	v_add_u32_e32 v232, s81, v232                              // 00000000A408: 69D1D051
	v_add_u32_e32 v233, s81, v233                              // 00000000A40C: 69D3D251
	v_add_u32_e32 v234, s81, v234                              // 00000000A410: 69D5D451
	v_mfma_f32_16x16x16_bf16 v[152:155], v[68:69], a[58:59], v[152:155]// 00000000A414: D3E10098 16627544
	s_mov_b32 m0, s77                                          // 00000000A41C: BEFC004D
	v_add_u32_e32 v11, s69, v11                                // 00000000A420: 68161645
	v_mfma_f32_16x16x16_bf16 v[152:155], v[70:71], a[62:63], v[152:155]// 00000000A424: D3E10098 16627D46
	s_cmp_ge_u32 s59, 32                                       // 00000000A42C: BF09A03B
	s_cselect_b32 s66, s67, s66                                // 00000000A430: 85424243
	v_mfma_f32_16x16x16_bf16 v[152:155], v[72:73], a[66:67], v[152:155]// 00000000A434: D3E10098 16628548
	s_addk_i32 s59, 0x20                                       // 00000000A43C: B73B0020
	s_nop 0                                                    // 00000000A440: BF800000
	s_cmp_lt_i32 s59, s58                                      // 00000000A444: BF043A3B
	v_mfma_f32_16x16x16_bf16 v[152:155], v[74:75], a[70:71], v[152:155]// 00000000A448: D3E10098 16628D4A
	s_cbranch_scc0 label_0FF2                                  // 00000000A450: BF84F64B
	s_branch label_0FF5                                        // 00000000A454: BF82F64D

000000000000a458 <label_19BA>:
	buffer_atomic_add_f32 v160, v8, s[32:35], 0 idxen          // 00000000A458: E1342000 8008A008
	buffer_atomic_add_f32 v161, v9, s[32:35], 0 idxen          // 00000000A460: E1342000 8008A109
	buffer_atomic_add_f32 v162, v8, s[32:35], 0 idxen offset:128// 00000000A468: E1342080 8008A208
	buffer_atomic_add_f32 v163, v9, s[32:35], 0 idxen offset:128// 00000000A470: E1342080 8008A309
	v_add_u32_e32 v6, s66, v6                                  // 00000000A478: 680C0C42
	v_add_u32_e32 v7, s66, v7                                  // 00000000A47C: 680E0E42
	v_add_u32_e32 v8, s66, v8                                  // 00000000A480: 68101042
	v_add_u32_e32 v9, s66, v9                                  // 00000000A484: 68121242
	v_lshrrev_b32_e32 v32, 5, v0                               // 00000000A488: 20400085
	v_mul_i32_i24_e32 v27, 0x44, v32                           // 00000000A48C: 0C3640FF 00000044
	v_and_b32_e32 v32, 31, v0                                  // 00000000A494: 2640009F
	v_mul_i32_i24_e32 v33, 2, v32                              // 00000000A498: 0C424082
	v_add_u32_e32 v27, v33, v27                                // 00000000A49C: 68363721
	s_mul_i32 s60, s46, 0x220                                  // 00000000A4A0: 923CFF2E 00000220
	v_add_u32_e32 v27, s60, v27                                // 00000000A4A8: 6836363C
	v_lshlrev_b32_e32 v27, 2, v27                              // 00000000A4AC: 24363682
	v_mul_f32_e32 v148, s47, v148                              // 00000000A4B0: 0B29282F
	v_mul_f32_e32 v149, s47, v149                              // 00000000A4B4: 0B2B2A2F
	v_mul_f32_e32 v150, s47, v150                              // 00000000A4B8: 0B2D2C2F
	v_mul_f32_e32 v151, s47, v151                              // 00000000A4BC: 0B2F2E2F
	v_mul_f32_e32 v152, s47, v152                              // 00000000A4C0: 0B31302F
	v_mul_f32_e32 v153, s47, v153                              // 00000000A4C4: 0B33322F
	v_mul_f32_e32 v154, s47, v154                              // 00000000A4C8: 0B35342F
	v_mul_f32_e32 v155, s47, v155                              // 00000000A4CC: 0B37362F
	ds_write_b64 v22, v[148:149] offset:31232                  // 00000000A4D0: D89A7A00 00009416
	ds_write_b64 v22, v[150:151] offset:31744                  // 00000000A4D8: D89A7C00 00009616
	ds_write_b64 v22, v[152:153] offset:32256                  // 00000000A4E0: D89A7E00 00009816
	ds_write_b64 v22, v[154:155] offset:32768                  // 00000000A4E8: D89A8000 00009A16
	s_waitcnt lgkmcnt(0)                                       // 00000000A4F0: BF8CC07F
	s_barrier                                                  // 00000000A4F4: BF8A0000
	ds_read_b64 v[156:157], v21 offset:31232                   // 00000000A4F8: D8EC7A00 9C000015
	ds_read_b64 v[158:159], v21 offset:33280                   // 00000000A500: D8EC8200 9E000015
	ds_read_b64 v[160:161], v21 offset:35328                   // 00000000A508: D8EC8A00 A0000015
	ds_read_b64 v[162:163], v21 offset:37376                   // 00000000A510: D8EC9200 A2000015
	s_waitcnt lgkmcnt(0)                                       // 00000000A518: BF8CC07F
	s_barrier                                                  // 00000000A51C: BF8A0000
	buffer_atomic_add_f32 v156, v6, s[32:35], 0 idxen          // 00000000A520: E1342000 80089C06
	buffer_atomic_add_f32 v157, v7, s[32:35], 0 idxen          // 00000000A528: E1342000 80089D07
	buffer_atomic_add_f32 v158, v6, s[32:35], 0 idxen offset:128// 00000000A530: E1342080 80089E06
	buffer_atomic_add_f32 v159, v7, s[32:35], 0 idxen offset:128// 00000000A538: E1342080 80089F07
	buffer_atomic_add_f32 v160, v8, s[32:35], 0 idxen          // 00000000A540: E1342000 8008A008
	buffer_atomic_add_f32 v161, v9, s[32:35], 0 idxen          // 00000000A548: E1342000 8008A109
	buffer_atomic_add_f32 v162, v8, s[32:35], 0 idxen offset:128// 00000000A550: E1342080 8008A208
	buffer_atomic_add_f32 v163, v9, s[32:35], 0 idxen offset:128// 00000000A558: E1342080 8008A309
	v_lshrrev_b32_e32 v32, 3, v0                               // 00000000A560: 20400083
	v_mul_i32_i24_e32 v26, 2, v32                              // 00000000A564: 0C344082
	v_and_b32_e32 v32, 7, v0                                   // 00000000A568: 26400087
	v_mul_i32_i24_e32 v33, 0x44, v32                           // 00000000A56C: 0C4240FF 00000044
	v_add_u32_e32 v26, v33, v26                                // 00000000A574: 68343521
	s_mul_i32 s60, s46, 0x220                                  // 00000000A578: 923CFF2E 00000220
	v_add_u32_e32 v26, s60, v26                                // 00000000A580: 6834343C
	v_lshlrev_b32_e32 v26, 2, v26                              // 00000000A584: 24343482
	v_accvgpr_read_b32 v34, a112                               // 00000000A588: D3D84022 18000170
	v_accvgpr_read_b32 v35, a113                               // 00000000A590: D3D84023 18000171
	v_mul_f32_e32 v34, s47, v34                                // 00000000A598: 0A44442F
	v_mul_f32_e32 v35, s47, v35                                // 00000000A59C: 0A46462F
	v_cmp_u_f32_e64 s[74:75], v34, v34                         // 00000000A5A0: D048004A 00024522
	v_bfe_u32 v226, v34, 16, 1                                 // 00000000A5A8: D1C800E2 02052122
	v_add3_u32 v226, v34, v226, v229                           // 00000000A5B0: D1FF00E2 0797C522
	v_cndmask_b32_e64 v32, v226, v228, s[74:75]                // 00000000A5B8: D1000020 012BC9E2
	v_lshrrev_b32_e32 v32, 16, v32                             // 00000000A5C0: 20404090
	v_cmp_u_f32_e64 s[74:75], v35, v35                         // 00000000A5C4: D048004A 00024723
	v_bfe_u32 v226, v35, 16, 1                                 // 00000000A5CC: D1C800E2 02052123
	v_add3_u32 v226, v35, v226, v229                           // 00000000A5D4: D1FF00E2 0797C523
	v_cndmask_b32_e64 v33, v226, v228, s[74:75]                // 00000000A5DC: D1000021 012BC9E2
	v_and_or_b32 v52, v33, v227, v32                           // 00000000A5E4: D2010034 0483C721
	v_accvgpr_read_b32 v34, a114                               // 00000000A5EC: D3D84022 18000172
	v_accvgpr_read_b32 v35, a115                               // 00000000A5F4: D3D84023 18000173
	v_mul_f32_e32 v34, s47, v34                                // 00000000A5FC: 0A44442F
	v_mul_f32_e32 v35, s47, v35                                // 00000000A600: 0A46462F
	v_cmp_u_f32_e64 s[74:75], v34, v34                         // 00000000A604: D048004A 00024522
	v_bfe_u32 v226, v34, 16, 1                                 // 00000000A60C: D1C800E2 02052122
	v_add3_u32 v226, v34, v226, v229                           // 00000000A614: D1FF00E2 0797C522
	v_cndmask_b32_e64 v32, v226, v228, s[74:75]                // 00000000A61C: D1000020 012BC9E2
	v_lshrrev_b32_e32 v32, 16, v32                             // 00000000A624: 20404090
	v_cmp_u_f32_e64 s[74:75], v35, v35                         // 00000000A628: D048004A 00024723
	v_bfe_u32 v226, v35, 16, 1                                 // 00000000A630: D1C800E2 02052123
	v_add3_u32 v226, v35, v226, v229                           // 00000000A638: D1FF00E2 0797C523
	v_cndmask_b32_e64 v33, v226, v228, s[74:75]                // 00000000A640: D1000021 012BC9E2
	v_and_or_b32 v53, v33, v227, v32                           // 00000000A648: D2010035 0483C721
	v_accvgpr_read_b32 v34, a116                               // 00000000A650: D3D84022 18000174
	v_accvgpr_read_b32 v35, a117                               // 00000000A658: D3D84023 18000175
	v_mul_f32_e32 v34, s47, v34                                // 00000000A660: 0A44442F
	v_mul_f32_e32 v35, s47, v35                                // 00000000A664: 0A46462F
	v_cmp_u_f32_e64 s[74:75], v34, v34                         // 00000000A668: D048004A 00024522
	v_bfe_u32 v226, v34, 16, 1                                 // 00000000A670: D1C800E2 02052122
	v_add3_u32 v226, v34, v226, v229                           // 00000000A678: D1FF00E2 0797C522
	v_cndmask_b32_e64 v32, v226, v228, s[74:75]                // 00000000A680: D1000020 012BC9E2
	v_lshrrev_b32_e32 v32, 16, v32                             // 00000000A688: 20404090
	v_cmp_u_f32_e64 s[74:75], v35, v35                         // 00000000A68C: D048004A 00024723
	v_bfe_u32 v226, v35, 16, 1                                 // 00000000A694: D1C800E2 02052123
	v_add3_u32 v226, v35, v226, v229                           // 00000000A69C: D1FF00E2 0797C523
	v_cndmask_b32_e64 v33, v226, v228, s[74:75]                // 00000000A6A4: D1000021 012BC9E2
	v_and_or_b32 v54, v33, v227, v32                           // 00000000A6AC: D2010036 0483C721
	v_accvgpr_read_b32 v34, a118                               // 00000000A6B4: D3D84022 18000176
	v_accvgpr_read_b32 v35, a119                               // 00000000A6BC: D3D84023 18000177
	v_mul_f32_e32 v34, s47, v34                                // 00000000A6C4: 0A44442F
	v_mul_f32_e32 v35, s47, v35                                // 00000000A6C8: 0A46462F
	v_cmp_u_f32_e64 s[74:75], v34, v34                         // 00000000A6CC: D048004A 00024522
	v_bfe_u32 v226, v34, 16, 1                                 // 00000000A6D4: D1C800E2 02052122
	v_add3_u32 v226, v34, v226, v229                           // 00000000A6DC: D1FF00E2 0797C522
	v_cndmask_b32_e64 v32, v226, v228, s[74:75]                // 00000000A6E4: D1000020 012BC9E2
	v_lshrrev_b32_e32 v32, 16, v32                             // 00000000A6EC: 20404090
	v_cmp_u_f32_e64 s[74:75], v35, v35                         // 00000000A6F0: D048004A 00024723
	v_bfe_u32 v226, v35, 16, 1                                 // 00000000A6F8: D1C800E2 02052123
	v_add3_u32 v226, v35, v226, v229                           // 00000000A700: D1FF00E2 0797C523
	v_cndmask_b32_e64 v33, v226, v228, s[74:75]                // 00000000A708: D1000021 012BC9E2
	v_and_or_b32 v55, v33, v227, v32                           // 00000000A710: D2010037 0483C721
	v_accvgpr_read_b32 v34, a120                               // 00000000A718: D3D84022 18000178
	v_accvgpr_read_b32 v35, a121                               // 00000000A720: D3D84023 18000179
	v_mul_f32_e32 v34, s47, v34                                // 00000000A728: 0A44442F
	v_mul_f32_e32 v35, s47, v35                                // 00000000A72C: 0A46462F
	v_cmp_u_f32_e64 s[74:75], v34, v34                         // 00000000A730: D048004A 00024522
	v_bfe_u32 v226, v34, 16, 1                                 // 00000000A738: D1C800E2 02052122
	v_add3_u32 v226, v34, v226, v229                           // 00000000A740: D1FF00E2 0797C522
	v_cndmask_b32_e64 v32, v226, v228, s[74:75]                // 00000000A748: D1000020 012BC9E2
	v_lshrrev_b32_e32 v32, 16, v32                             // 00000000A750: 20404090
	v_cmp_u_f32_e64 s[74:75], v35, v35                         // 00000000A754: D048004A 00024723
	v_bfe_u32 v226, v35, 16, 1                                 // 00000000A75C: D1C800E2 02052123
	v_add3_u32 v226, v35, v226, v229                           // 00000000A764: D1FF00E2 0797C523
	v_cndmask_b32_e64 v33, v226, v228, s[74:75]                // 00000000A76C: D1000021 012BC9E2
	v_and_or_b32 v56, v33, v227, v32                           // 00000000A774: D2010038 0483C721
	v_accvgpr_read_b32 v34, a122                               // 00000000A77C: D3D84022 1800017A
	v_accvgpr_read_b32 v35, a123                               // 00000000A784: D3D84023 1800017B
	v_mul_f32_e32 v34, s47, v34                                // 00000000A78C: 0A44442F
	v_mul_f32_e32 v35, s47, v35                                // 00000000A790: 0A46462F
	v_cmp_u_f32_e64 s[74:75], v34, v34                         // 00000000A794: D048004A 00024522
	v_bfe_u32 v226, v34, 16, 1                                 // 00000000A79C: D1C800E2 02052122
	v_add3_u32 v226, v34, v226, v229                           // 00000000A7A4: D1FF00E2 0797C522
	v_cndmask_b32_e64 v32, v226, v228, s[74:75]                // 00000000A7AC: D1000020 012BC9E2
	v_lshrrev_b32_e32 v32, 16, v32                             // 00000000A7B4: 20404090
	v_cmp_u_f32_e64 s[74:75], v35, v35                         // 00000000A7B8: D048004A 00024723
	v_bfe_u32 v226, v35, 16, 1                                 // 00000000A7C0: D1C800E2 02052123
	v_add3_u32 v226, v35, v226, v229                           // 00000000A7C8: D1FF00E2 0797C523
	v_cndmask_b32_e64 v33, v226, v228, s[74:75]                // 00000000A7D0: D1000021 012BC9E2
	v_and_or_b32 v57, v33, v227, v32                           // 00000000A7D8: D2010039 0483C721
	v_accvgpr_read_b32 v34, a124                               // 00000000A7E0: D3D84022 1800017C
	v_accvgpr_read_b32 v35, a125                               // 00000000A7E8: D3D84023 1800017D
	v_mul_f32_e32 v34, s47, v34                                // 00000000A7F0: 0A44442F
	v_mul_f32_e32 v35, s47, v35                                // 00000000A7F4: 0A46462F
	v_cmp_u_f32_e64 s[74:75], v34, v34                         // 00000000A7F8: D048004A 00024522
	v_bfe_u32 v226, v34, 16, 1                                 // 00000000A800: D1C800E2 02052122
	v_add3_u32 v226, v34, v226, v229                           // 00000000A808: D1FF00E2 0797C522
	v_cndmask_b32_e64 v32, v226, v228, s[74:75]                // 00000000A810: D1000020 012BC9E2
	v_lshrrev_b32_e32 v32, 16, v32                             // 00000000A818: 20404090
	v_cmp_u_f32_e64 s[74:75], v35, v35                         // 00000000A81C: D048004A 00024723
	v_bfe_u32 v226, v35, 16, 1                                 // 00000000A824: D1C800E2 02052123
	v_add3_u32 v226, v35, v226, v229                           // 00000000A82C: D1FF00E2 0797C523
	v_cndmask_b32_e64 v33, v226, v228, s[74:75]                // 00000000A834: D1000021 012BC9E2
	v_and_or_b32 v58, v33, v227, v32                           // 00000000A83C: D201003A 0483C721
	v_accvgpr_read_b32 v34, a126                               // 00000000A844: D3D84022 1800017E
	v_accvgpr_read_b32 v35, a127                               // 00000000A84C: D3D84023 1800017F
	v_mul_f32_e32 v34, s47, v34                                // 00000000A854: 0A44442F
	v_mul_f32_e32 v35, s47, v35                                // 00000000A858: 0A46462F
	v_cmp_u_f32_e64 s[74:75], v34, v34                         // 00000000A85C: D048004A 00024522
	v_bfe_u32 v226, v34, 16, 1                                 // 00000000A864: D1C800E2 02052122
	v_add3_u32 v226, v34, v226, v229                           // 00000000A86C: D1FF00E2 0797C522
	v_cndmask_b32_e64 v32, v226, v228, s[74:75]                // 00000000A874: D1000020 012BC9E2
	v_lshrrev_b32_e32 v32, 16, v32                             // 00000000A87C: 20404090
	v_cmp_u_f32_e64 s[74:75], v35, v35                         // 00000000A880: D048004A 00024723
	v_bfe_u32 v226, v35, 16, 1                                 // 00000000A888: D1C800E2 02052123
	v_add3_u32 v226, v35, v226, v229                           // 00000000A890: D1FF00E2 0797C523
	v_cndmask_b32_e64 v33, v226, v228, s[74:75]                // 00000000A898: D1000021 012BC9E2
	v_and_or_b32 v59, v33, v227, v32                           // 00000000A8A0: D201003B 0483C721
	ds_write_b64 v27, v[52:53]                                 // 00000000A8A8: D89A0000 0000341B
	ds_write_b64 v27, v[54:55] offset:544                      // 00000000A8B0: D89A0220 0000361B
	ds_write_b64 v27, v[56:57] offset:1088                     // 00000000A8B8: D89A0440 0000381B
	ds_write_b64 v27, v[58:59] offset:1632                     // 00000000A8C0: D89A0660 00003A1B
	s_waitcnt lgkmcnt(0)                                       // 00000000A8C8: BF8CC07F
	s_barrier                                                  // 00000000A8CC: BF8A0000
	ds_read_b64 v[52:53], v26                                  // 00000000A8D0: D8EC0000 3400001A
	ds_read_b64 v[54:55], v26 offset:128                       // 00000000A8D8: D8EC0080 3600001A
	ds_read_b64 v[56:57], v26 offset:64                        // 00000000A8E0: D8EC0040 3800001A
	ds_read_b64 v[58:59], v26 offset:192                       // 00000000A8E8: D8EC00C0 3A00001A
	s_waitcnt lgkmcnt(0)                                       // 00000000A8F0: BF8CC07F
	s_mov_b32 s70, s52                                         // 00000000A8F4: BEC60034
	buffer_store_dwordx4 v[52:55], v5, s[36:39], 0 idxen       // 00000000A8F8: E07C2000 80093405
	s_mul_i32 s60, 2, s70                                      // 00000000A900: 923C4682
	v_add_u32_e32 v5, s60, v5                                  // 00000000A904: 680A0A3C
	buffer_store_dwordx4 v[56:59], v5, s[36:39], 0 idxen       // 00000000A908: E07C2000 80093805
	s_mul_i32 s60, 2, s70                                      // 00000000A910: 923C4682
	v_add_u32_e32 v5, s60, v5                                  // 00000000A914: 680A0A3C
	s_mul_i32 s60, 12, s70                                     // 00000000A918: 923C468C
	v_add_u32_e32 v5, s60, v5                                  // 00000000A91C: 680A0A3C
	s_barrier                                                  // 00000000A920: BF8A0000
	s_cmp_ge_i32 1, s73                                        // 00000000A924: BF034981
	s_cbranch_scc1 label_1CC1                                  // 00000000A928: BF8501D2
	v_accvgpr_read_b32 v34, a128                               // 00000000A92C: D3D84022 18000180
	v_accvgpr_read_b32 v35, a129                               // 00000000A934: D3D84023 18000181
	v_mul_f32_e32 v34, s47, v34                                // 00000000A93C: 0A44442F
	v_mul_f32_e32 v35, s47, v35                                // 00000000A940: 0A46462F
	v_cmp_u_f32_e64 s[74:75], v34, v34                         // 00000000A944: D048004A 00024522
	v_bfe_u32 v226, v34, 16, 1                                 // 00000000A94C: D1C800E2 02052122
	v_add3_u32 v226, v34, v226, v229                           // 00000000A954: D1FF00E2 0797C522
	v_cndmask_b32_e64 v32, v226, v228, s[74:75]                // 00000000A95C: D1000020 012BC9E2
	v_lshrrev_b32_e32 v32, 16, v32                             // 00000000A964: 20404090
	v_cmp_u_f32_e64 s[74:75], v35, v35                         // 00000000A968: D048004A 00024723
	v_bfe_u32 v226, v35, 16, 1                                 // 00000000A970: D1C800E2 02052123
	v_add3_u32 v226, v35, v226, v229                           // 00000000A978: D1FF00E2 0797C523
	v_cndmask_b32_e64 v33, v226, v228, s[74:75]                // 00000000A980: D1000021 012BC9E2
	v_and_or_b32 v60, v33, v227, v32                           // 00000000A988: D201003C 0483C721
	v_accvgpr_read_b32 v34, a130                               // 00000000A990: D3D84022 18000182
	v_accvgpr_read_b32 v35, a131                               // 00000000A998: D3D84023 18000183
	v_mul_f32_e32 v34, s47, v34                                // 00000000A9A0: 0A44442F
	v_mul_f32_e32 v35, s47, v35                                // 00000000A9A4: 0A46462F
	v_cmp_u_f32_e64 s[74:75], v34, v34                         // 00000000A9A8: D048004A 00024522
	v_bfe_u32 v226, v34, 16, 1                                 // 00000000A9B0: D1C800E2 02052122
	v_add3_u32 v226, v34, v226, v229                           // 00000000A9B8: D1FF00E2 0797C522
	v_cndmask_b32_e64 v32, v226, v228, s[74:75]                // 00000000A9C0: D1000020 012BC9E2
	v_lshrrev_b32_e32 v32, 16, v32                             // 00000000A9C8: 20404090
	v_cmp_u_f32_e64 s[74:75], v35, v35                         // 00000000A9CC: D048004A 00024723
	v_bfe_u32 v226, v35, 16, 1                                 // 00000000A9D4: D1C800E2 02052123
	v_add3_u32 v226, v35, v226, v229                           // 00000000A9DC: D1FF00E2 0797C523
	v_cndmask_b32_e64 v33, v226, v228, s[74:75]                // 00000000A9E4: D1000021 012BC9E2
	v_and_or_b32 v61, v33, v227, v32                           // 00000000A9EC: D201003D 0483C721
	v_accvgpr_read_b32 v34, a132                               // 00000000A9F4: D3D84022 18000184
	v_accvgpr_read_b32 v35, a133                               // 00000000A9FC: D3D84023 18000185
	v_mul_f32_e32 v34, s47, v34                                // 00000000AA04: 0A44442F
	v_mul_f32_e32 v35, s47, v35                                // 00000000AA08: 0A46462F
	v_cmp_u_f32_e64 s[74:75], v34, v34                         // 00000000AA0C: D048004A 00024522
	v_bfe_u32 v226, v34, 16, 1                                 // 00000000AA14: D1C800E2 02052122
	v_add3_u32 v226, v34, v226, v229                           // 00000000AA1C: D1FF00E2 0797C522
	v_cndmask_b32_e64 v32, v226, v228, s[74:75]                // 00000000AA24: D1000020 012BC9E2
	v_lshrrev_b32_e32 v32, 16, v32                             // 00000000AA2C: 20404090
	v_cmp_u_f32_e64 s[74:75], v35, v35                         // 00000000AA30: D048004A 00024723
	v_bfe_u32 v226, v35, 16, 1                                 // 00000000AA38: D1C800E2 02052123
	v_add3_u32 v226, v35, v226, v229                           // 00000000AA40: D1FF00E2 0797C523
	v_cndmask_b32_e64 v33, v226, v228, s[74:75]                // 00000000AA48: D1000021 012BC9E2
	v_and_or_b32 v62, v33, v227, v32                           // 00000000AA50: D201003E 0483C721
	v_accvgpr_read_b32 v34, a134                               // 00000000AA58: D3D84022 18000186
	v_accvgpr_read_b32 v35, a135                               // 00000000AA60: D3D84023 18000187
	v_mul_f32_e32 v34, s47, v34                                // 00000000AA68: 0A44442F
	v_mul_f32_e32 v35, s47, v35                                // 00000000AA6C: 0A46462F
	v_cmp_u_f32_e64 s[74:75], v34, v34                         // 00000000AA70: D048004A 00024522
	v_bfe_u32 v226, v34, 16, 1                                 // 00000000AA78: D1C800E2 02052122
	v_add3_u32 v226, v34, v226, v229                           // 00000000AA80: D1FF00E2 0797C522
	v_cndmask_b32_e64 v32, v226, v228, s[74:75]                // 00000000AA88: D1000020 012BC9E2
	v_lshrrev_b32_e32 v32, 16, v32                             // 00000000AA90: 20404090
	v_cmp_u_f32_e64 s[74:75], v35, v35                         // 00000000AA94: D048004A 00024723
	v_bfe_u32 v226, v35, 16, 1                                 // 00000000AA9C: D1C800E2 02052123
	v_add3_u32 v226, v35, v226, v229                           // 00000000AAA4: D1FF00E2 0797C523
	v_cndmask_b32_e64 v33, v226, v228, s[74:75]                // 00000000AAAC: D1000021 012BC9E2
	v_and_or_b32 v63, v33, v227, v32                           // 00000000AAB4: D201003F 0483C721
	v_accvgpr_read_b32 v34, a136                               // 00000000AABC: D3D84022 18000188
	v_accvgpr_read_b32 v35, a137                               // 00000000AAC4: D3D84023 18000189
	v_mul_f32_e32 v34, s47, v34                                // 00000000AACC: 0A44442F
	v_mul_f32_e32 v35, s47, v35                                // 00000000AAD0: 0A46462F
	v_cmp_u_f32_e64 s[74:75], v34, v34                         // 00000000AAD4: D048004A 00024522
	v_bfe_u32 v226, v34, 16, 1                                 // 00000000AADC: D1C800E2 02052122
	v_add3_u32 v226, v34, v226, v229                           // 00000000AAE4: D1FF00E2 0797C522
	v_cndmask_b32_e64 v32, v226, v228, s[74:75]                // 00000000AAEC: D1000020 012BC9E2
	v_lshrrev_b32_e32 v32, 16, v32                             // 00000000AAF4: 20404090
	v_cmp_u_f32_e64 s[74:75], v35, v35                         // 00000000AAF8: D048004A 00024723
	v_bfe_u32 v226, v35, 16, 1                                 // 00000000AB00: D1C800E2 02052123
	v_add3_u32 v226, v35, v226, v229                           // 00000000AB08: D1FF00E2 0797C523
	v_cndmask_b32_e64 v33, v226, v228, s[74:75]                // 00000000AB10: D1000021 012BC9E2
	v_and_or_b32 v64, v33, v227, v32                           // 00000000AB18: D2010040 0483C721
	v_accvgpr_read_b32 v34, a138                               // 00000000AB20: D3D84022 1800018A
	v_accvgpr_read_b32 v35, a139                               // 00000000AB28: D3D84023 1800018B
	v_mul_f32_e32 v34, s47, v34                                // 00000000AB30: 0A44442F
	v_mul_f32_e32 v35, s47, v35                                // 00000000AB34: 0A46462F
	v_cmp_u_f32_e64 s[74:75], v34, v34                         // 00000000AB38: D048004A 00024522
	v_bfe_u32 v226, v34, 16, 1                                 // 00000000AB40: D1C800E2 02052122
	v_add3_u32 v226, v34, v226, v229                           // 00000000AB48: D1FF00E2 0797C522
	v_cndmask_b32_e64 v32, v226, v228, s[74:75]                // 00000000AB50: D1000020 012BC9E2
	v_lshrrev_b32_e32 v32, 16, v32                             // 00000000AB58: 20404090
	v_cmp_u_f32_e64 s[74:75], v35, v35                         // 00000000AB5C: D048004A 00024723
	v_bfe_u32 v226, v35, 16, 1                                 // 00000000AB64: D1C800E2 02052123
	v_add3_u32 v226, v35, v226, v229                           // 00000000AB6C: D1FF00E2 0797C523
	v_cndmask_b32_e64 v33, v226, v228, s[74:75]                // 00000000AB74: D1000021 012BC9E2
	v_and_or_b32 v65, v33, v227, v32                           // 00000000AB7C: D2010041 0483C721
	v_accvgpr_read_b32 v34, a140                               // 00000000AB84: D3D84022 1800018C
	v_accvgpr_read_b32 v35, a141                               // 00000000AB8C: D3D84023 1800018D
	v_mul_f32_e32 v34, s47, v34                                // 00000000AB94: 0A44442F
	v_mul_f32_e32 v35, s47, v35                                // 00000000AB98: 0A46462F
	v_cmp_u_f32_e64 s[74:75], v34, v34                         // 00000000AB9C: D048004A 00024522
	v_bfe_u32 v226, v34, 16, 1                                 // 00000000ABA4: D1C800E2 02052122
	v_add3_u32 v226, v34, v226, v229                           // 00000000ABAC: D1FF00E2 0797C522
	v_cndmask_b32_e64 v32, v226, v228, s[74:75]                // 00000000ABB4: D1000020 012BC9E2
	v_lshrrev_b32_e32 v32, 16, v32                             // 00000000ABBC: 20404090
	v_cmp_u_f32_e64 s[74:75], v35, v35                         // 00000000ABC0: D048004A 00024723
	v_bfe_u32 v226, v35, 16, 1                                 // 00000000ABC8: D1C800E2 02052123
	v_add3_u32 v226, v35, v226, v229                           // 00000000ABD0: D1FF00E2 0797C523
	v_cndmask_b32_e64 v33, v226, v228, s[74:75]                // 00000000ABD8: D1000021 012BC9E2
	v_and_or_b32 v66, v33, v227, v32                           // 00000000ABE0: D2010042 0483C721
	v_accvgpr_read_b32 v34, a142                               // 00000000ABE8: D3D84022 1800018E
	v_accvgpr_read_b32 v35, a143                               // 00000000ABF0: D3D84023 1800018F
	v_mul_f32_e32 v34, s47, v34                                // 00000000ABF8: 0A44442F
	v_mul_f32_e32 v35, s47, v35                                // 00000000ABFC: 0A46462F
	v_cmp_u_f32_e64 s[74:75], v34, v34                         // 00000000AC00: D048004A 00024522
	v_bfe_u32 v226, v34, 16, 1                                 // 00000000AC08: D1C800E2 02052122
	v_add3_u32 v226, v34, v226, v229                           // 00000000AC10: D1FF00E2 0797C522
	v_cndmask_b32_e64 v32, v226, v228, s[74:75]                // 00000000AC18: D1000020 012BC9E2
	v_lshrrev_b32_e32 v32, 16, v32                             // 00000000AC20: 20404090
	v_cmp_u_f32_e64 s[74:75], v35, v35                         // 00000000AC24: D048004A 00024723
	v_bfe_u32 v226, v35, 16, 1                                 // 00000000AC2C: D1C800E2 02052123
	v_add3_u32 v226, v35, v226, v229                           // 00000000AC34: D1FF00E2 0797C523
	v_cndmask_b32_e64 v33, v226, v228, s[74:75]                // 00000000AC3C: D1000021 012BC9E2
	v_and_or_b32 v67, v33, v227, v32                           // 00000000AC44: D2010043 0483C721
	ds_write_b64 v27, v[60:61] offset:8704                     // 00000000AC4C: D89A2200 00003C1B
	ds_write_b64 v27, v[62:63] offset:9248                     // 00000000AC54: D89A2420 00003E1B
	ds_write_b64 v27, v[64:65] offset:9792                     // 00000000AC5C: D89A2640 0000401B
	ds_write_b64 v27, v[66:67] offset:10336                    // 00000000AC64: D89A2860 0000421B
	s_waitcnt lgkmcnt(0)                                       // 00000000AC6C: BF8CC07F
	s_barrier                                                  // 00000000AC70: BF8A0000
	ds_read_b64 v[60:61], v26 offset:8704                      // 00000000AC74: D8EC2200 3C00001A
	ds_read_b64 v[62:63], v26 offset:8832                      // 00000000AC7C: D8EC2280 3E00001A
	ds_read_b64 v[64:65], v26 offset:8768                      // 00000000AC84: D8EC2240 4000001A
	ds_read_b64 v[66:67], v26 offset:8896                      // 00000000AC8C: D8EC22C0 4200001A
	s_waitcnt lgkmcnt(0)                                       // 00000000AC94: BF8CC07F
	s_mov_b32 s70, s52                                         // 00000000AC98: BEC60034
	buffer_store_dwordx4 v[60:63], v5, s[36:39], 0 idxen       // 00000000AC9C: E07C2000 80093C05
	s_mul_i32 s60, 2, s70                                      // 00000000ACA4: 923C4682
	v_add_u32_e32 v5, s60, v5                                  // 00000000ACA8: 680A0A3C
	buffer_store_dwordx4 v[64:67], v5, s[36:39], 0 idxen       // 00000000ACAC: E07C2000 80094005
	s_mul_i32 s60, 2, s70                                      // 00000000ACB4: 923C4682
	v_add_u32_e32 v5, s60, v5                                  // 00000000ACB8: 680A0A3C
	s_mul_i32 s60, 12, s70                                     // 00000000ACBC: 923C468C
	v_add_u32_e32 v5, s60, v5                                  // 00000000ACC0: 680A0A3C
	s_barrier                                                  // 00000000ACC4: BF8A0000
	s_cmp_ge_i32 2, s73                                        // 00000000ACC8: BF034982
	s_cbranch_scc1 label_1CC1                                  // 00000000ACCC: BF8500E9
	v_accvgpr_read_b32 v34, a144                               // 00000000ACD0: D3D84022 18000190
	v_accvgpr_read_b32 v35, a145                               // 00000000ACD8: D3D84023 18000191
	v_mul_f32_e32 v34, s47, v34                                // 00000000ACE0: 0A44442F
	v_mul_f32_e32 v35, s47, v35                                // 00000000ACE4: 0A46462F
	v_cmp_u_f32_e64 s[74:75], v34, v34                         // 00000000ACE8: D048004A 00024522
	v_bfe_u32 v226, v34, 16, 1                                 // 00000000ACF0: D1C800E2 02052122
	v_add3_u32 v226, v34, v226, v229                           // 00000000ACF8: D1FF00E2 0797C522
	v_cndmask_b32_e64 v32, v226, v228, s[74:75]                // 00000000AD00: D1000020 012BC9E2
	v_lshrrev_b32_e32 v32, 16, v32                             // 00000000AD08: 20404090
	v_cmp_u_f32_e64 s[74:75], v35, v35                         // 00000000AD0C: D048004A 00024723
	v_bfe_u32 v226, v35, 16, 1                                 // 00000000AD14: D1C800E2 02052123
	v_add3_u32 v226, v35, v226, v229                           // 00000000AD1C: D1FF00E2 0797C523
	v_cndmask_b32_e64 v33, v226, v228, s[74:75]                // 00000000AD24: D1000021 012BC9E2
	v_and_or_b32 v68, v33, v227, v32                           // 00000000AD2C: D2010044 0483C721
	v_accvgpr_read_b32 v34, a146                               // 00000000AD34: D3D84022 18000192
	v_accvgpr_read_b32 v35, a147                               // 00000000AD3C: D3D84023 18000193
	v_mul_f32_e32 v34, s47, v34                                // 00000000AD44: 0A44442F
	v_mul_f32_e32 v35, s47, v35                                // 00000000AD48: 0A46462F
	v_cmp_u_f32_e64 s[74:75], v34, v34                         // 00000000AD4C: D048004A 00024522
	v_bfe_u32 v226, v34, 16, 1                                 // 00000000AD54: D1C800E2 02052122
	v_add3_u32 v226, v34, v226, v229                           // 00000000AD5C: D1FF00E2 0797C522
	v_cndmask_b32_e64 v32, v226, v228, s[74:75]                // 00000000AD64: D1000020 012BC9E2
	v_lshrrev_b32_e32 v32, 16, v32                             // 00000000AD6C: 20404090
	v_cmp_u_f32_e64 s[74:75], v35, v35                         // 00000000AD70: D048004A 00024723
	v_bfe_u32 v226, v35, 16, 1                                 // 00000000AD78: D1C800E2 02052123
	v_add3_u32 v226, v35, v226, v229                           // 00000000AD80: D1FF00E2 0797C523
	v_cndmask_b32_e64 v33, v226, v228, s[74:75]                // 00000000AD88: D1000021 012BC9E2
	v_and_or_b32 v69, v33, v227, v32                           // 00000000AD90: D2010045 0483C721
	v_accvgpr_read_b32 v34, a148                               // 00000000AD98: D3D84022 18000194
	v_accvgpr_read_b32 v35, a149                               // 00000000ADA0: D3D84023 18000195
	v_mul_f32_e32 v34, s47, v34                                // 00000000ADA8: 0A44442F
	v_mul_f32_e32 v35, s47, v35                                // 00000000ADAC: 0A46462F
	v_cmp_u_f32_e64 s[74:75], v34, v34                         // 00000000ADB0: D048004A 00024522
	v_bfe_u32 v226, v34, 16, 1                                 // 00000000ADB8: D1C800E2 02052122
	v_add3_u32 v226, v34, v226, v229                           // 00000000ADC0: D1FF00E2 0797C522
	v_cndmask_b32_e64 v32, v226, v228, s[74:75]                // 00000000ADC8: D1000020 012BC9E2
	v_lshrrev_b32_e32 v32, 16, v32                             // 00000000ADD0: 20404090
	v_cmp_u_f32_e64 s[74:75], v35, v35                         // 00000000ADD4: D048004A 00024723
	v_bfe_u32 v226, v35, 16, 1                                 // 00000000ADDC: D1C800E2 02052123
	v_add3_u32 v226, v35, v226, v229                           // 00000000ADE4: D1FF00E2 0797C523
	v_cndmask_b32_e64 v33, v226, v228, s[74:75]                // 00000000ADEC: D1000021 012BC9E2
	v_and_or_b32 v70, v33, v227, v32                           // 00000000ADF4: D2010046 0483C721
	v_accvgpr_read_b32 v34, a150                               // 00000000ADFC: D3D84022 18000196
	v_accvgpr_read_b32 v35, a151                               // 00000000AE04: D3D84023 18000197
	v_mul_f32_e32 v34, s47, v34                                // 00000000AE0C: 0A44442F
	v_mul_f32_e32 v35, s47, v35                                // 00000000AE10: 0A46462F
	v_cmp_u_f32_e64 s[74:75], v34, v34                         // 00000000AE14: D048004A 00024522
	v_bfe_u32 v226, v34, 16, 1                                 // 00000000AE1C: D1C800E2 02052122
	v_add3_u32 v226, v34, v226, v229                           // 00000000AE24: D1FF00E2 0797C522
	v_cndmask_b32_e64 v32, v226, v228, s[74:75]                // 00000000AE2C: D1000020 012BC9E2
	v_lshrrev_b32_e32 v32, 16, v32                             // 00000000AE34: 20404090
	v_cmp_u_f32_e64 s[74:75], v35, v35                         // 00000000AE38: D048004A 00024723
	v_bfe_u32 v226, v35, 16, 1                                 // 00000000AE40: D1C800E2 02052123
	v_add3_u32 v226, v35, v226, v229                           // 00000000AE48: D1FF00E2 0797C523
	v_cndmask_b32_e64 v33, v226, v228, s[74:75]                // 00000000AE50: D1000021 012BC9E2
	v_and_or_b32 v71, v33, v227, v32                           // 00000000AE58: D2010047 0483C721
	v_accvgpr_read_b32 v34, a152                               // 00000000AE60: D3D84022 18000198
	v_accvgpr_read_b32 v35, a153                               // 00000000AE68: D3D84023 18000199
	v_mul_f32_e32 v34, s47, v34                                // 00000000AE70: 0A44442F
	v_mul_f32_e32 v35, s47, v35                                // 00000000AE74: 0A46462F
	v_cmp_u_f32_e64 s[74:75], v34, v34                         // 00000000AE78: D048004A 00024522
	v_bfe_u32 v226, v34, 16, 1                                 // 00000000AE80: D1C800E2 02052122
	v_add3_u32 v226, v34, v226, v229                           // 00000000AE88: D1FF00E2 0797C522
	v_cndmask_b32_e64 v32, v226, v228, s[74:75]                // 00000000AE90: D1000020 012BC9E2
	v_lshrrev_b32_e32 v32, 16, v32                             // 00000000AE98: 20404090
	v_cmp_u_f32_e64 s[74:75], v35, v35                         // 00000000AE9C: D048004A 00024723
	v_bfe_u32 v226, v35, 16, 1                                 // 00000000AEA4: D1C800E2 02052123
	v_add3_u32 v226, v35, v226, v229                           // 00000000AEAC: D1FF00E2 0797C523
	v_cndmask_b32_e64 v33, v226, v228, s[74:75]                // 00000000AEB4: D1000021 012BC9E2
	v_and_or_b32 v72, v33, v227, v32                           // 00000000AEBC: D2010048 0483C721
	v_accvgpr_read_b32 v34, a154                               // 00000000AEC4: D3D84022 1800019A
	v_accvgpr_read_b32 v35, a155                               // 00000000AECC: D3D84023 1800019B
	v_mul_f32_e32 v34, s47, v34                                // 00000000AED4: 0A44442F
	v_mul_f32_e32 v35, s47, v35                                // 00000000AED8: 0A46462F
	v_cmp_u_f32_e64 s[74:75], v34, v34                         // 00000000AEDC: D048004A 00024522
	v_bfe_u32 v226, v34, 16, 1                                 // 00000000AEE4: D1C800E2 02052122
	v_add3_u32 v226, v34, v226, v229                           // 00000000AEEC: D1FF00E2 0797C522
	v_cndmask_b32_e64 v32, v226, v228, s[74:75]                // 00000000AEF4: D1000020 012BC9E2
	v_lshrrev_b32_e32 v32, 16, v32                             // 00000000AEFC: 20404090
	v_cmp_u_f32_e64 s[74:75], v35, v35                         // 00000000AF00: D048004A 00024723
	v_bfe_u32 v226, v35, 16, 1                                 // 00000000AF08: D1C800E2 02052123
	v_add3_u32 v226, v35, v226, v229                           // 00000000AF10: D1FF00E2 0797C523
	v_cndmask_b32_e64 v33, v226, v228, s[74:75]                // 00000000AF18: D1000021 012BC9E2
	v_and_or_b32 v73, v33, v227, v32                           // 00000000AF20: D2010049 0483C721
	v_accvgpr_read_b32 v34, a156                               // 00000000AF28: D3D84022 1800019C
	v_accvgpr_read_b32 v35, a157                               // 00000000AF30: D3D84023 1800019D
	v_mul_f32_e32 v34, s47, v34                                // 00000000AF38: 0A44442F
	v_mul_f32_e32 v35, s47, v35                                // 00000000AF3C: 0A46462F
	v_cmp_u_f32_e64 s[74:75], v34, v34                         // 00000000AF40: D048004A 00024522
	v_bfe_u32 v226, v34, 16, 1                                 // 00000000AF48: D1C800E2 02052122
	v_add3_u32 v226, v34, v226, v229                           // 00000000AF50: D1FF00E2 0797C522
	v_cndmask_b32_e64 v32, v226, v228, s[74:75]                // 00000000AF58: D1000020 012BC9E2
	v_lshrrev_b32_e32 v32, 16, v32                             // 00000000AF60: 20404090
	v_cmp_u_f32_e64 s[74:75], v35, v35                         // 00000000AF64: D048004A 00024723
	v_bfe_u32 v226, v35, 16, 1                                 // 00000000AF6C: D1C800E2 02052123
	v_add3_u32 v226, v35, v226, v229                           // 00000000AF74: D1FF00E2 0797C523
	v_cndmask_b32_e64 v33, v226, v228, s[74:75]                // 00000000AF7C: D1000021 012BC9E2
	v_and_or_b32 v74, v33, v227, v32                           // 00000000AF84: D201004A 0483C721
	v_accvgpr_read_b32 v34, a158                               // 00000000AF8C: D3D84022 1800019E
	v_accvgpr_read_b32 v35, a159                               // 00000000AF94: D3D84023 1800019F
	v_mul_f32_e32 v34, s47, v34                                // 00000000AF9C: 0A44442F
	v_mul_f32_e32 v35, s47, v35                                // 00000000AFA0: 0A46462F
	v_cmp_u_f32_e64 s[74:75], v34, v34                         // 00000000AFA4: D048004A 00024522
	v_bfe_u32 v226, v34, 16, 1                                 // 00000000AFAC: D1C800E2 02052122
	v_add3_u32 v226, v34, v226, v229                           // 00000000AFB4: D1FF00E2 0797C522
	v_cndmask_b32_e64 v32, v226, v228, s[74:75]                // 00000000AFBC: D1000020 012BC9E2
	v_lshrrev_b32_e32 v32, 16, v32                             // 00000000AFC4: 20404090
	v_cmp_u_f32_e64 s[74:75], v35, v35                         // 00000000AFC8: D048004A 00024723
	v_bfe_u32 v226, v35, 16, 1                                 // 00000000AFD0: D1C800E2 02052123
	v_add3_u32 v226, v35, v226, v229                           // 00000000AFD8: D1FF00E2 0797C523
	v_cndmask_b32_e64 v33, v226, v228, s[74:75]                // 00000000AFE0: D1000021 012BC9E2
	v_and_or_b32 v75, v33, v227, v32                           // 00000000AFE8: D201004B 0483C721
	ds_write_b64 v27, v[68:69] offset:17408                    // 00000000AFF0: D89A4400 0000441B
	ds_write_b64 v27, v[70:71] offset:17952                    // 00000000AFF8: D89A4620 0000461B
	ds_write_b64 v27, v[72:73] offset:18496                    // 00000000B000: D89A4840 0000481B
	ds_write_b64 v27, v[74:75] offset:19040                    // 00000000B008: D89A4A60 00004A1B
	s_waitcnt lgkmcnt(0)                                       // 00000000B010: BF8CC07F
	s_barrier                                                  // 00000000B014: BF8A0000
	ds_read_b64 v[68:69], v26 offset:17408                     // 00000000B018: D8EC4400 4400001A
	ds_read_b64 v[70:71], v26 offset:17536                     // 00000000B020: D8EC4480 4600001A
	ds_read_b64 v[72:73], v26 offset:17472                     // 00000000B028: D8EC4440 4800001A
	ds_read_b64 v[74:75], v26 offset:17600                     // 00000000B030: D8EC44C0 4A00001A
	s_waitcnt lgkmcnt(0)                                       // 00000000B038: BF8CC07F
	s_mov_b32 s70, s52                                         // 00000000B03C: BEC60034
	buffer_store_dwordx4 v[68:71], v5, s[36:39], 0 idxen       // 00000000B040: E07C2000 80094405
	s_mul_i32 s60, 2, s70                                      // 00000000B048: 923C4682
	v_add_u32_e32 v5, s60, v5                                  // 00000000B04C: 680A0A3C
	buffer_store_dwordx4 v[72:75], v5, s[36:39], 0 idxen       // 00000000B050: E07C2000 80094805
	s_mul_i32 s60, 2, s70                                      // 00000000B058: 923C4682
	v_add_u32_e32 v5, s60, v5                                  // 00000000B05C: 680A0A3C
	s_mul_i32 s60, 12, s70                                     // 00000000B060: 923C468C
	v_add_u32_e32 v5, s60, v5                                  // 00000000B064: 680A0A3C
	s_barrier                                                  // 00000000B068: BF8A0000
	s_cmp_ge_i32 3, s73                                        // 00000000B06C: BF034983
	s_cbranch_scc1 label_1CC1                                  // 00000000B070: BF850000

000000000000b074 <label_1CC1>:
	v_mov_b32_e32 v34, v178                                    // 00000000B074: 7E4403B2
	v_mov_b32_e32 v35, v179                                    // 00000000B078: 7E4603B3
	v_cmp_u_f32_e64 s[74:75], v34, v34                         // 00000000B07C: D048004A 00024522
	v_bfe_u32 v226, v34, 16, 1                                 // 00000000B084: D1C800E2 02052122
	v_add3_u32 v226, v34, v226, v229                           // 00000000B08C: D1FF00E2 0797C522
	v_cndmask_b32_e64 v32, v226, v228, s[74:75]                // 00000000B094: D1000020 012BC9E2
	v_lshrrev_b32_e32 v32, 16, v32                             // 00000000B09C: 20404090
	v_cmp_u_f32_e64 s[74:75], v35, v35                         // 00000000B0A0: D048004A 00024723
	v_bfe_u32 v226, v35, 16, 1                                 // 00000000B0A8: D1C800E2 02052123
	v_add3_u32 v226, v35, v226, v229                           // 00000000B0B0: D1FF00E2 0797C523
	v_cndmask_b32_e64 v33, v226, v228, s[74:75]                // 00000000B0B8: D1000021 012BC9E2
	v_and_or_b32 v178, v33, v227, v32                          // 00000000B0C0: D20100B2 0483C721
	v_mov_b32_e32 v34, v180                                    // 00000000B0C8: 7E4403B4
	v_mov_b32_e32 v35, v181                                    // 00000000B0CC: 7E4603B5
	v_cmp_u_f32_e64 s[74:75], v34, v34                         // 00000000B0D0: D048004A 00024522
	v_bfe_u32 v226, v34, 16, 1                                 // 00000000B0D8: D1C800E2 02052122
	v_add3_u32 v226, v34, v226, v229                           // 00000000B0E0: D1FF00E2 0797C522
	v_cndmask_b32_e64 v32, v226, v228, s[74:75]                // 00000000B0E8: D1000020 012BC9E2
	v_lshrrev_b32_e32 v32, 16, v32                             // 00000000B0F0: 20404090
	v_cmp_u_f32_e64 s[74:75], v35, v35                         // 00000000B0F4: D048004A 00024723
	v_bfe_u32 v226, v35, 16, 1                                 // 00000000B0FC: D1C800E2 02052123
	v_add3_u32 v226, v35, v226, v229                           // 00000000B104: D1FF00E2 0797C523
	v_cndmask_b32_e64 v33, v226, v228, s[74:75]                // 00000000B10C: D1000021 012BC9E2
	v_and_or_b32 v179, v33, v227, v32                          // 00000000B114: D20100B3 0483C721
	v_mov_b32_e32 v34, v182                                    // 00000000B11C: 7E4403B6
	v_mov_b32_e32 v35, v183                                    // 00000000B120: 7E4603B7
	v_cmp_u_f32_e64 s[74:75], v34, v34                         // 00000000B124: D048004A 00024522
	v_bfe_u32 v226, v34, 16, 1                                 // 00000000B12C: D1C800E2 02052122
	v_add3_u32 v226, v34, v226, v229                           // 00000000B134: D1FF00E2 0797C522
	v_cndmask_b32_e64 v32, v226, v228, s[74:75]                // 00000000B13C: D1000020 012BC9E2
	v_lshrrev_b32_e32 v32, 16, v32                             // 00000000B144: 20404090
	v_cmp_u_f32_e64 s[74:75], v35, v35                         // 00000000B148: D048004A 00024723
	v_bfe_u32 v226, v35, 16, 1                                 // 00000000B150: D1C800E2 02052123
	v_add3_u32 v226, v35, v226, v229                           // 00000000B158: D1FF00E2 0797C523
	v_cndmask_b32_e64 v33, v226, v228, s[74:75]                // 00000000B160: D1000021 012BC9E2
	v_and_or_b32 v180, v33, v227, v32                          // 00000000B168: D20100B4 0483C721
	v_mov_b32_e32 v34, v184                                    // 00000000B170: 7E4403B8
	v_mov_b32_e32 v35, v185                                    // 00000000B174: 7E4603B9
	v_cmp_u_f32_e64 s[74:75], v34, v34                         // 00000000B178: D048004A 00024522
	v_bfe_u32 v226, v34, 16, 1                                 // 00000000B180: D1C800E2 02052122
	v_add3_u32 v226, v34, v226, v229                           // 00000000B188: D1FF00E2 0797C522
	v_cndmask_b32_e64 v32, v226, v228, s[74:75]                // 00000000B190: D1000020 012BC9E2
	v_lshrrev_b32_e32 v32, 16, v32                             // 00000000B198: 20404090
	v_cmp_u_f32_e64 s[74:75], v35, v35                         // 00000000B19C: D048004A 00024723
	v_bfe_u32 v226, v35, 16, 1                                 // 00000000B1A4: D1C800E2 02052123
	v_add3_u32 v226, v35, v226, v229                           // 00000000B1AC: D1FF00E2 0797C523
	v_cndmask_b32_e64 v33, v226, v228, s[74:75]                // 00000000B1B4: D1000021 012BC9E2
	v_and_or_b32 v181, v33, v227, v32                          // 00000000B1BC: D20100B5 0483C721
	v_mov_b32_e32 v34, v186                                    // 00000000B1C4: 7E4403BA
	v_mov_b32_e32 v35, v187                                    // 00000000B1C8: 7E4603BB
	v_cmp_u_f32_e64 s[74:75], v34, v34                         // 00000000B1CC: D048004A 00024522
	v_bfe_u32 v226, v34, 16, 1                                 // 00000000B1D4: D1C800E2 02052122
	v_add3_u32 v226, v34, v226, v229                           // 00000000B1DC: D1FF00E2 0797C522
	v_cndmask_b32_e64 v32, v226, v228, s[74:75]                // 00000000B1E4: D1000020 012BC9E2
	v_lshrrev_b32_e32 v32, 16, v32                             // 00000000B1EC: 20404090
	v_cmp_u_f32_e64 s[74:75], v35, v35                         // 00000000B1F0: D048004A 00024723
	v_bfe_u32 v226, v35, 16, 1                                 // 00000000B1F8: D1C800E2 02052123
	v_add3_u32 v226, v35, v226, v229                           // 00000000B200: D1FF00E2 0797C523
	v_cndmask_b32_e64 v33, v226, v228, s[74:75]                // 00000000B208: D1000021 012BC9E2
	v_and_or_b32 v182, v33, v227, v32                          // 00000000B210: D20100B6 0483C721
	v_mov_b32_e32 v34, v188                                    // 00000000B218: 7E4403BC
	v_mov_b32_e32 v35, v189                                    // 00000000B21C: 7E4603BD
	v_cmp_u_f32_e64 s[74:75], v34, v34                         // 00000000B220: D048004A 00024522
	v_bfe_u32 v226, v34, 16, 1                                 // 00000000B228: D1C800E2 02052122
	v_add3_u32 v226, v34, v226, v229                           // 00000000B230: D1FF00E2 0797C522
	v_cndmask_b32_e64 v32, v226, v228, s[74:75]                // 00000000B238: D1000020 012BC9E2
	v_lshrrev_b32_e32 v32, 16, v32                             // 00000000B240: 20404090
	v_cmp_u_f32_e64 s[74:75], v35, v35                         // 00000000B244: D048004A 00024723
	v_bfe_u32 v226, v35, 16, 1                                 // 00000000B24C: D1C800E2 02052123
	v_add3_u32 v226, v35, v226, v229                           // 00000000B254: D1FF00E2 0797C523
	v_cndmask_b32_e64 v33, v226, v228, s[74:75]                // 00000000B25C: D1000021 012BC9E2
	v_and_or_b32 v183, v33, v227, v32                          // 00000000B264: D20100B7 0483C721
	v_mov_b32_e32 v34, v190                                    // 00000000B26C: 7E4403BE
	v_mov_b32_e32 v35, v191                                    // 00000000B270: 7E4603BF
	v_cmp_u_f32_e64 s[74:75], v34, v34                         // 00000000B274: D048004A 00024522
	v_bfe_u32 v226, v34, 16, 1                                 // 00000000B27C: D1C800E2 02052122
	v_add3_u32 v226, v34, v226, v229                           // 00000000B284: D1FF00E2 0797C522
	v_cndmask_b32_e64 v32, v226, v228, s[74:75]                // 00000000B28C: D1000020 012BC9E2
	v_lshrrev_b32_e32 v32, 16, v32                             // 00000000B294: 20404090
	v_cmp_u_f32_e64 s[74:75], v35, v35                         // 00000000B298: D048004A 00024723
	v_bfe_u32 v226, v35, 16, 1                                 // 00000000B2A0: D1C800E2 02052123
	v_add3_u32 v226, v35, v226, v229                           // 00000000B2A8: D1FF00E2 0797C523
	v_cndmask_b32_e64 v33, v226, v228, s[74:75]                // 00000000B2B0: D1000021 012BC9E2
	v_and_or_b32 v184, v33, v227, v32                          // 00000000B2B8: D20100B8 0483C721
	v_mov_b32_e32 v34, v192                                    // 00000000B2C0: 7E4403C0
	v_mov_b32_e32 v35, v193                                    // 00000000B2C4: 7E4603C1
	v_cmp_u_f32_e64 s[74:75], v34, v34                         // 00000000B2C8: D048004A 00024522
	v_bfe_u32 v226, v34, 16, 1                                 // 00000000B2D0: D1C800E2 02052122
	v_add3_u32 v226, v34, v226, v229                           // 00000000B2D8: D1FF00E2 0797C522
	v_cndmask_b32_e64 v32, v226, v228, s[74:75]                // 00000000B2E0: D1000020 012BC9E2
	v_lshrrev_b32_e32 v32, 16, v32                             // 00000000B2E8: 20404090
	v_cmp_u_f32_e64 s[74:75], v35, v35                         // 00000000B2EC: D048004A 00024723
	v_bfe_u32 v226, v35, 16, 1                                 // 00000000B2F4: D1C800E2 02052123
	v_add3_u32 v226, v35, v226, v229                           // 00000000B2FC: D1FF00E2 0797C523
	v_cndmask_b32_e64 v33, v226, v228, s[74:75]                // 00000000B304: D1000021 012BC9E2
	v_and_or_b32 v185, v33, v227, v32                          // 00000000B30C: D20100B9 0483C721
	ds_write_b64 v27, v[178:179]                               // 00000000B314: D89A0000 0000B21B
	ds_write_b64 v27, v[180:181] offset:544                    // 00000000B31C: D89A0220 0000B41B
	ds_write_b64 v27, v[182:183] offset:1088                   // 00000000B324: D89A0440 0000B61B
	ds_write_b64 v27, v[184:185] offset:1632                   // 00000000B32C: D89A0660 0000B81B
	s_waitcnt lgkmcnt(0)                                       // 00000000B334: BF8CC07F
	s_barrier                                                  // 00000000B338: BF8A0000
	ds_read_b64 v[178:179], v26                                // 00000000B33C: D8EC0000 B200001A
	ds_read_b64 v[180:181], v26 offset:128                     // 00000000B344: D8EC0080 B400001A
	ds_read_b64 v[182:183], v26 offset:64                      // 00000000B34C: D8EC0040 B600001A
	ds_read_b64 v[184:185], v26 offset:192                     // 00000000B354: D8EC00C0 B800001A
	s_waitcnt lgkmcnt(0)                                       // 00000000B35C: BF8CC07F
	s_mov_b32 s70, s53                                         // 00000000B360: BEC60035
	buffer_store_dwordx4 v[178:181], v10, s[40:43], 0 idxen    // 00000000B364: E07C2000 800AB20A
	s_mul_i32 s60, 2, s70                                      // 00000000B36C: 923C4682
	v_add_u32_e32 v10, s60, v10                                // 00000000B370: 6814143C
	buffer_store_dwordx4 v[182:185], v10, s[40:43], 0 idxen    // 00000000B374: E07C2000 800AB60A
	s_mul_i32 s60, 2, s70                                      // 00000000B37C: 923C4682
	v_add_u32_e32 v10, s60, v10                                // 00000000B380: 6814143C
	s_mul_i32 s60, 12, s70                                     // 00000000B384: 923C468C
	v_add_u32_e32 v10, s60, v10                                // 00000000B388: 6814143C
	s_cmp_ge_i32 1, s73                                        // 00000000B38C: BF034981
	s_cbranch_scc1 label_1F19                                  // 00000000B390: BF850190
	v_mov_b32_e32 v34, v194                                    // 00000000B394: 7E4403C2
	v_mov_b32_e32 v35, v195                                    // 00000000B398: 7E4603C3
	v_cmp_u_f32_e64 s[74:75], v34, v34                         // 00000000B39C: D048004A 00024522
	v_bfe_u32 v226, v34, 16, 1                                 // 00000000B3A4: D1C800E2 02052122
	v_add3_u32 v226, v34, v226, v229                           // 00000000B3AC: D1FF00E2 0797C522
	v_cndmask_b32_e64 v32, v226, v228, s[74:75]                // 00000000B3B4: D1000020 012BC9E2
	v_lshrrev_b32_e32 v32, 16, v32                             // 00000000B3BC: 20404090
	v_cmp_u_f32_e64 s[74:75], v35, v35                         // 00000000B3C0: D048004A 00024723
	v_bfe_u32 v226, v35, 16, 1                                 // 00000000B3C8: D1C800E2 02052123
	v_add3_u32 v226, v35, v226, v229                           // 00000000B3D0: D1FF00E2 0797C523
	v_cndmask_b32_e64 v33, v226, v228, s[74:75]                // 00000000B3D8: D1000021 012BC9E2
	v_and_or_b32 v186, v33, v227, v32                          // 00000000B3E0: D20100BA 0483C721
	v_mov_b32_e32 v34, v196                                    // 00000000B3E8: 7E4403C4
	v_mov_b32_e32 v35, v197                                    // 00000000B3EC: 7E4603C5
	v_cmp_u_f32_e64 s[74:75], v34, v34                         // 00000000B3F0: D048004A 00024522
	v_bfe_u32 v226, v34, 16, 1                                 // 00000000B3F8: D1C800E2 02052122
	v_add3_u32 v226, v34, v226, v229                           // 00000000B400: D1FF00E2 0797C522
	v_cndmask_b32_e64 v32, v226, v228, s[74:75]                // 00000000B408: D1000020 012BC9E2
	v_lshrrev_b32_e32 v32, 16, v32                             // 00000000B410: 20404090
	v_cmp_u_f32_e64 s[74:75], v35, v35                         // 00000000B414: D048004A 00024723
	v_bfe_u32 v226, v35, 16, 1                                 // 00000000B41C: D1C800E2 02052123
	v_add3_u32 v226, v35, v226, v229                           // 00000000B424: D1FF00E2 0797C523
	v_cndmask_b32_e64 v33, v226, v228, s[74:75]                // 00000000B42C: D1000021 012BC9E2
	v_and_or_b32 v187, v33, v227, v32                          // 00000000B434: D20100BB 0483C721
	v_mov_b32_e32 v34, v198                                    // 00000000B43C: 7E4403C6
	v_mov_b32_e32 v35, v199                                    // 00000000B440: 7E4603C7
	v_cmp_u_f32_e64 s[74:75], v34, v34                         // 00000000B444: D048004A 00024522
	v_bfe_u32 v226, v34, 16, 1                                 // 00000000B44C: D1C800E2 02052122
	v_add3_u32 v226, v34, v226, v229                           // 00000000B454: D1FF00E2 0797C522
	v_cndmask_b32_e64 v32, v226, v228, s[74:75]                // 00000000B45C: D1000020 012BC9E2
	v_lshrrev_b32_e32 v32, 16, v32                             // 00000000B464: 20404090
	v_cmp_u_f32_e64 s[74:75], v35, v35                         // 00000000B468: D048004A 00024723
	v_bfe_u32 v226, v35, 16, 1                                 // 00000000B470: D1C800E2 02052123
	v_add3_u32 v226, v35, v226, v229                           // 00000000B478: D1FF00E2 0797C523
	v_cndmask_b32_e64 v33, v226, v228, s[74:75]                // 00000000B480: D1000021 012BC9E2
	v_and_or_b32 v188, v33, v227, v32                          // 00000000B488: D20100BC 0483C721
	v_mov_b32_e32 v34, v200                                    // 00000000B490: 7E4403C8
	v_mov_b32_e32 v35, v201                                    // 00000000B494: 7E4603C9
	v_cmp_u_f32_e64 s[74:75], v34, v34                         // 00000000B498: D048004A 00024522
	v_bfe_u32 v226, v34, 16, 1                                 // 00000000B4A0: D1C800E2 02052122
	v_add3_u32 v226, v34, v226, v229                           // 00000000B4A8: D1FF00E2 0797C522
	v_cndmask_b32_e64 v32, v226, v228, s[74:75]                // 00000000B4B0: D1000020 012BC9E2
	v_lshrrev_b32_e32 v32, 16, v32                             // 00000000B4B8: 20404090
	v_cmp_u_f32_e64 s[74:75], v35, v35                         // 00000000B4BC: D048004A 00024723
	v_bfe_u32 v226, v35, 16, 1                                 // 00000000B4C4: D1C800E2 02052123
	v_add3_u32 v226, v35, v226, v229                           // 00000000B4CC: D1FF00E2 0797C523
	v_cndmask_b32_e64 v33, v226, v228, s[74:75]                // 00000000B4D4: D1000021 012BC9E2
	v_and_or_b32 v189, v33, v227, v32                          // 00000000B4DC: D20100BD 0483C721
	v_mov_b32_e32 v34, v202                                    // 00000000B4E4: 7E4403CA
	v_mov_b32_e32 v35, v203                                    // 00000000B4E8: 7E4603CB
	v_cmp_u_f32_e64 s[74:75], v34, v34                         // 00000000B4EC: D048004A 00024522
	v_bfe_u32 v226, v34, 16, 1                                 // 00000000B4F4: D1C800E2 02052122
	v_add3_u32 v226, v34, v226, v229                           // 00000000B4FC: D1FF00E2 0797C522
	v_cndmask_b32_e64 v32, v226, v228, s[74:75]                // 00000000B504: D1000020 012BC9E2
	v_lshrrev_b32_e32 v32, 16, v32                             // 00000000B50C: 20404090
	v_cmp_u_f32_e64 s[74:75], v35, v35                         // 00000000B510: D048004A 00024723
	v_bfe_u32 v226, v35, 16, 1                                 // 00000000B518: D1C800E2 02052123
	v_add3_u32 v226, v35, v226, v229                           // 00000000B520: D1FF00E2 0797C523
	v_cndmask_b32_e64 v33, v226, v228, s[74:75]                // 00000000B528: D1000021 012BC9E2
	v_and_or_b32 v190, v33, v227, v32                          // 00000000B530: D20100BE 0483C721
	v_mov_b32_e32 v34, v204                                    // 00000000B538: 7E4403CC
	v_mov_b32_e32 v35, v205                                    // 00000000B53C: 7E4603CD
	v_cmp_u_f32_e64 s[74:75], v34, v34                         // 00000000B540: D048004A 00024522
	v_bfe_u32 v226, v34, 16, 1                                 // 00000000B548: D1C800E2 02052122
	v_add3_u32 v226, v34, v226, v229                           // 00000000B550: D1FF00E2 0797C522
	v_cndmask_b32_e64 v32, v226, v228, s[74:75]                // 00000000B558: D1000020 012BC9E2
	v_lshrrev_b32_e32 v32, 16, v32                             // 00000000B560: 20404090
	v_cmp_u_f32_e64 s[74:75], v35, v35                         // 00000000B564: D048004A 00024723
	v_bfe_u32 v226, v35, 16, 1                                 // 00000000B56C: D1C800E2 02052123
	v_add3_u32 v226, v35, v226, v229                           // 00000000B574: D1FF00E2 0797C523
	v_cndmask_b32_e64 v33, v226, v228, s[74:75]                // 00000000B57C: D1000021 012BC9E2
	v_and_or_b32 v191, v33, v227, v32                          // 00000000B584: D20100BF 0483C721
	v_mov_b32_e32 v34, v206                                    // 00000000B58C: 7E4403CE
	v_mov_b32_e32 v35, v207                                    // 00000000B590: 7E4603CF
	v_cmp_u_f32_e64 s[74:75], v34, v34                         // 00000000B594: D048004A 00024522
	v_bfe_u32 v226, v34, 16, 1                                 // 00000000B59C: D1C800E2 02052122
	v_add3_u32 v226, v34, v226, v229                           // 00000000B5A4: D1FF00E2 0797C522
	v_cndmask_b32_e64 v32, v226, v228, s[74:75]                // 00000000B5AC: D1000020 012BC9E2
	v_lshrrev_b32_e32 v32, 16, v32                             // 00000000B5B4: 20404090
	v_cmp_u_f32_e64 s[74:75], v35, v35                         // 00000000B5B8: D048004A 00024723
	v_bfe_u32 v226, v35, 16, 1                                 // 00000000B5C0: D1C800E2 02052123
	v_add3_u32 v226, v35, v226, v229                           // 00000000B5C8: D1FF00E2 0797C523
	v_cndmask_b32_e64 v33, v226, v228, s[74:75]                // 00000000B5D0: D1000021 012BC9E2
	v_and_or_b32 v192, v33, v227, v32                          // 00000000B5D8: D20100C0 0483C721
	v_mov_b32_e32 v34, v208                                    // 00000000B5E0: 7E4403D0
	v_mov_b32_e32 v35, v209                                    // 00000000B5E4: 7E4603D1
	v_cmp_u_f32_e64 s[74:75], v34, v34                         // 00000000B5E8: D048004A 00024522
	v_bfe_u32 v226, v34, 16, 1                                 // 00000000B5F0: D1C800E2 02052122
	v_add3_u32 v226, v34, v226, v229                           // 00000000B5F8: D1FF00E2 0797C522
	v_cndmask_b32_e64 v32, v226, v228, s[74:75]                // 00000000B600: D1000020 012BC9E2
	v_lshrrev_b32_e32 v32, 16, v32                             // 00000000B608: 20404090
	v_cmp_u_f32_e64 s[74:75], v35, v35                         // 00000000B60C: D048004A 00024723
	v_bfe_u32 v226, v35, 16, 1                                 // 00000000B614: D1C800E2 02052123
	v_add3_u32 v226, v35, v226, v229                           // 00000000B61C: D1FF00E2 0797C523
	v_cndmask_b32_e64 v33, v226, v228, s[74:75]                // 00000000B624: D1000021 012BC9E2
	v_and_or_b32 v193, v33, v227, v32                          // 00000000B62C: D20100C1 0483C721
	ds_write_b64 v27, v[186:187] offset:8704                   // 00000000B634: D89A2200 0000BA1B
	ds_write_b64 v27, v[188:189] offset:9248                   // 00000000B63C: D89A2420 0000BC1B
	ds_write_b64 v27, v[190:191] offset:9792                   // 00000000B644: D89A2640 0000BE1B
	ds_write_b64 v27, v[192:193] offset:10336                  // 00000000B64C: D89A2860 0000C01B
	s_waitcnt lgkmcnt(0)                                       // 00000000B654: BF8CC07F
	s_barrier                                                  // 00000000B658: BF8A0000
	ds_read_b64 v[186:187], v26 offset:8704                    // 00000000B65C: D8EC2200 BA00001A
	ds_read_b64 v[188:189], v26 offset:8832                    // 00000000B664: D8EC2280 BC00001A
	ds_read_b64 v[190:191], v26 offset:8768                    // 00000000B66C: D8EC2240 BE00001A
	ds_read_b64 v[192:193], v26 offset:8896                    // 00000000B674: D8EC22C0 C000001A
	s_waitcnt lgkmcnt(0)                                       // 00000000B67C: BF8CC07F
	s_mov_b32 s70, s53                                         // 00000000B680: BEC60035
	buffer_store_dwordx4 v[186:189], v10, s[40:43], 0 idxen    // 00000000B684: E07C2000 800ABA0A
	s_mul_i32 s60, 2, s70                                      // 00000000B68C: 923C4682
	v_add_u32_e32 v10, s60, v10                                // 00000000B690: 6814143C
	buffer_store_dwordx4 v[190:193], v10, s[40:43], 0 idxen    // 00000000B694: E07C2000 800ABE0A
	s_mul_i32 s60, 2, s70                                      // 00000000B69C: 923C4682
	v_add_u32_e32 v10, s60, v10                                // 00000000B6A0: 6814143C
	s_mul_i32 s60, 12, s70                                     // 00000000B6A4: 923C468C
	v_add_u32_e32 v10, s60, v10                                // 00000000B6A8: 6814143C
	s_cmp_ge_i32 2, s73                                        // 00000000B6AC: BF034982
	s_cbranch_scc1 label_1F19                                  // 00000000B6B0: BF8500C8
	v_mov_b32_e32 v34, v210                                    // 00000000B6B4: 7E4403D2
	v_mov_b32_e32 v35, v211                                    // 00000000B6B8: 7E4603D3
	v_cmp_u_f32_e64 s[74:75], v34, v34                         // 00000000B6BC: D048004A 00024522
	v_bfe_u32 v226, v34, 16, 1                                 // 00000000B6C4: D1C800E2 02052122
	v_add3_u32 v226, v34, v226, v229                           // 00000000B6CC: D1FF00E2 0797C522
	v_cndmask_b32_e64 v32, v226, v228, s[74:75]                // 00000000B6D4: D1000020 012BC9E2
	v_lshrrev_b32_e32 v32, 16, v32                             // 00000000B6DC: 20404090
	v_cmp_u_f32_e64 s[74:75], v35, v35                         // 00000000B6E0: D048004A 00024723
	v_bfe_u32 v226, v35, 16, 1                                 // 00000000B6E8: D1C800E2 02052123
	v_add3_u32 v226, v35, v226, v229                           // 00000000B6F0: D1FF00E2 0797C523
	v_cndmask_b32_e64 v33, v226, v228, s[74:75]                // 00000000B6F8: D1000021 012BC9E2
	v_and_or_b32 v194, v33, v227, v32                          // 00000000B700: D20100C2 0483C721
	v_mov_b32_e32 v34, v212                                    // 00000000B708: 7E4403D4
	v_mov_b32_e32 v35, v213                                    // 00000000B70C: 7E4603D5
	v_cmp_u_f32_e64 s[74:75], v34, v34                         // 00000000B710: D048004A 00024522
	v_bfe_u32 v226, v34, 16, 1                                 // 00000000B718: D1C800E2 02052122
	v_add3_u32 v226, v34, v226, v229                           // 00000000B720: D1FF00E2 0797C522
	v_cndmask_b32_e64 v32, v226, v228, s[74:75]                // 00000000B728: D1000020 012BC9E2
	v_lshrrev_b32_e32 v32, 16, v32                             // 00000000B730: 20404090
	v_cmp_u_f32_e64 s[74:75], v35, v35                         // 00000000B734: D048004A 00024723
	v_bfe_u32 v226, v35, 16, 1                                 // 00000000B73C: D1C800E2 02052123
	v_add3_u32 v226, v35, v226, v229                           // 00000000B744: D1FF00E2 0797C523
	v_cndmask_b32_e64 v33, v226, v228, s[74:75]                // 00000000B74C: D1000021 012BC9E2
	v_and_or_b32 v195, v33, v227, v32                          // 00000000B754: D20100C3 0483C721
	v_mov_b32_e32 v34, v214                                    // 00000000B75C: 7E4403D6
	v_mov_b32_e32 v35, v215                                    // 00000000B760: 7E4603D7
	v_cmp_u_f32_e64 s[74:75], v34, v34                         // 00000000B764: D048004A 00024522
	v_bfe_u32 v226, v34, 16, 1                                 // 00000000B76C: D1C800E2 02052122
	v_add3_u32 v226, v34, v226, v229                           // 00000000B774: D1FF00E2 0797C522
	v_cndmask_b32_e64 v32, v226, v228, s[74:75]                // 00000000B77C: D1000020 012BC9E2
	v_lshrrev_b32_e32 v32, 16, v32                             // 00000000B784: 20404090
	v_cmp_u_f32_e64 s[74:75], v35, v35                         // 00000000B788: D048004A 00024723
	v_bfe_u32 v226, v35, 16, 1                                 // 00000000B790: D1C800E2 02052123
	v_add3_u32 v226, v35, v226, v229                           // 00000000B798: D1FF00E2 0797C523
	v_cndmask_b32_e64 v33, v226, v228, s[74:75]                // 00000000B7A0: D1000021 012BC9E2
	v_and_or_b32 v196, v33, v227, v32                          // 00000000B7A8: D20100C4 0483C721
	v_mov_b32_e32 v34, v216                                    // 00000000B7B0: 7E4403D8
	v_mov_b32_e32 v35, v217                                    // 00000000B7B4: 7E4603D9
	v_cmp_u_f32_e64 s[74:75], v34, v34                         // 00000000B7B8: D048004A 00024522
	v_bfe_u32 v226, v34, 16, 1                                 // 00000000B7C0: D1C800E2 02052122
	v_add3_u32 v226, v34, v226, v229                           // 00000000B7C8: D1FF00E2 0797C522
	v_cndmask_b32_e64 v32, v226, v228, s[74:75]                // 00000000B7D0: D1000020 012BC9E2
	v_lshrrev_b32_e32 v32, 16, v32                             // 00000000B7D8: 20404090
	v_cmp_u_f32_e64 s[74:75], v35, v35                         // 00000000B7DC: D048004A 00024723
	v_bfe_u32 v226, v35, 16, 1                                 // 00000000B7E4: D1C800E2 02052123
	v_add3_u32 v226, v35, v226, v229                           // 00000000B7EC: D1FF00E2 0797C523
	v_cndmask_b32_e64 v33, v226, v228, s[74:75]                // 00000000B7F4: D1000021 012BC9E2
	v_and_or_b32 v197, v33, v227, v32                          // 00000000B7FC: D20100C5 0483C721
	v_mov_b32_e32 v34, v218                                    // 00000000B804: 7E4403DA
	v_mov_b32_e32 v35, v219                                    // 00000000B808: 7E4603DB
	v_cmp_u_f32_e64 s[74:75], v34, v34                         // 00000000B80C: D048004A 00024522
	v_bfe_u32 v226, v34, 16, 1                                 // 00000000B814: D1C800E2 02052122
	v_add3_u32 v226, v34, v226, v229                           // 00000000B81C: D1FF00E2 0797C522
	v_cndmask_b32_e64 v32, v226, v228, s[74:75]                // 00000000B824: D1000020 012BC9E2
	v_lshrrev_b32_e32 v32, 16, v32                             // 00000000B82C: 20404090
	v_cmp_u_f32_e64 s[74:75], v35, v35                         // 00000000B830: D048004A 00024723
	v_bfe_u32 v226, v35, 16, 1                                 // 00000000B838: D1C800E2 02052123
	v_add3_u32 v226, v35, v226, v229                           // 00000000B840: D1FF00E2 0797C523
	v_cndmask_b32_e64 v33, v226, v228, s[74:75]                // 00000000B848: D1000021 012BC9E2
	v_and_or_b32 v198, v33, v227, v32                          // 00000000B850: D20100C6 0483C721
	v_mov_b32_e32 v34, v220                                    // 00000000B858: 7E4403DC
	v_mov_b32_e32 v35, v221                                    // 00000000B85C: 7E4603DD
	v_cmp_u_f32_e64 s[74:75], v34, v34                         // 00000000B860: D048004A 00024522
	v_bfe_u32 v226, v34, 16, 1                                 // 00000000B868: D1C800E2 02052122
	v_add3_u32 v226, v34, v226, v229                           // 00000000B870: D1FF00E2 0797C522
	v_cndmask_b32_e64 v32, v226, v228, s[74:75]                // 00000000B878: D1000020 012BC9E2
	v_lshrrev_b32_e32 v32, 16, v32                             // 00000000B880: 20404090
	v_cmp_u_f32_e64 s[74:75], v35, v35                         // 00000000B884: D048004A 00024723
	v_bfe_u32 v226, v35, 16, 1                                 // 00000000B88C: D1C800E2 02052123
	v_add3_u32 v226, v35, v226, v229                           // 00000000B894: D1FF00E2 0797C523
	v_cndmask_b32_e64 v33, v226, v228, s[74:75]                // 00000000B89C: D1000021 012BC9E2
	v_and_or_b32 v199, v33, v227, v32                          // 00000000B8A4: D20100C7 0483C721
	v_mov_b32_e32 v34, v222                                    // 00000000B8AC: 7E4403DE
	v_mov_b32_e32 v35, v223                                    // 00000000B8B0: 7E4603DF
	v_cmp_u_f32_e64 s[74:75], v34, v34                         // 00000000B8B4: D048004A 00024522
	v_bfe_u32 v226, v34, 16, 1                                 // 00000000B8BC: D1C800E2 02052122
	v_add3_u32 v226, v34, v226, v229                           // 00000000B8C4: D1FF00E2 0797C522
	v_cndmask_b32_e64 v32, v226, v228, s[74:75]                // 00000000B8CC: D1000020 012BC9E2
	v_lshrrev_b32_e32 v32, 16, v32                             // 00000000B8D4: 20404090
	v_cmp_u_f32_e64 s[74:75], v35, v35                         // 00000000B8D8: D048004A 00024723
	v_bfe_u32 v226, v35, 16, 1                                 // 00000000B8E0: D1C800E2 02052123
	v_add3_u32 v226, v35, v226, v229                           // 00000000B8E8: D1FF00E2 0797C523
	v_cndmask_b32_e64 v33, v226, v228, s[74:75]                // 00000000B8F0: D1000021 012BC9E2
	v_and_or_b32 v200, v33, v227, v32                          // 00000000B8F8: D20100C8 0483C721
	v_mov_b32_e32 v34, v224                                    // 00000000B900: 7E4403E0
	v_mov_b32_e32 v35, v225                                    // 00000000B904: 7E4603E1
	v_cmp_u_f32_e64 s[74:75], v34, v34                         // 00000000B908: D048004A 00024522
	v_bfe_u32 v226, v34, 16, 1                                 // 00000000B910: D1C800E2 02052122
	v_add3_u32 v226, v34, v226, v229                           // 00000000B918: D1FF00E2 0797C522
	v_cndmask_b32_e64 v32, v226, v228, s[74:75]                // 00000000B920: D1000020 012BC9E2
	v_lshrrev_b32_e32 v32, 16, v32                             // 00000000B928: 20404090
	v_cmp_u_f32_e64 s[74:75], v35, v35                         // 00000000B92C: D048004A 00024723
	v_bfe_u32 v226, v35, 16, 1                                 // 00000000B934: D1C800E2 02052123
	v_add3_u32 v226, v35, v226, v229                           // 00000000B93C: D1FF00E2 0797C523
	v_cndmask_b32_e64 v33, v226, v228, s[74:75]                // 00000000B944: D1000021 012BC9E2
	v_and_or_b32 v201, v33, v227, v32                          // 00000000B94C: D20100C9 0483C721
	ds_write_b64 v27, v[194:195] offset:17408                  // 00000000B954: D89A4400 0000C21B
	ds_write_b64 v27, v[196:197] offset:17952                  // 00000000B95C: D89A4620 0000C41B
	ds_write_b64 v27, v[198:199] offset:18496                  // 00000000B964: D89A4840 0000C61B
	ds_write_b64 v27, v[200:201] offset:19040                  // 00000000B96C: D89A4A60 0000C81B
	s_waitcnt lgkmcnt(0)                                       // 00000000B974: BF8CC07F
	s_barrier                                                  // 00000000B978: BF8A0000
	ds_read_b64 v[194:195], v26 offset:17408                   // 00000000B97C: D8EC4400 C200001A
	ds_read_b64 v[196:197], v26 offset:17536                   // 00000000B984: D8EC4480 C400001A
	ds_read_b64 v[198:199], v26 offset:17472                   // 00000000B98C: D8EC4440 C600001A
	ds_read_b64 v[200:201], v26 offset:17600                   // 00000000B994: D8EC44C0 C800001A
	s_waitcnt lgkmcnt(0)                                       // 00000000B99C: BF8CC07F
	s_mov_b32 s70, s53                                         // 00000000B9A0: BEC60035
	buffer_store_dwordx4 v[194:197], v10, s[40:43], 0 idxen    // 00000000B9A4: E07C2000 800AC20A
	s_mul_i32 s60, 2, s70                                      // 00000000B9AC: 923C4682
	v_add_u32_e32 v10, s60, v10                                // 00000000B9B0: 6814143C
	buffer_store_dwordx4 v[198:201], v10, s[40:43], 0 idxen    // 00000000B9B4: E07C2000 800AC60A
	s_mul_i32 s60, 2, s70                                      // 00000000B9BC: 923C4682
	v_add_u32_e32 v10, s60, v10                                // 00000000B9C0: 6814143C
	s_mul_i32 s60, 12, s70                                     // 00000000B9C4: 923C468C
	v_add_u32_e32 v10, s60, v10                                // 00000000B9C8: 6814143C
	s_cmp_ge_i32 3, s73                                        // 00000000B9CC: BF034983
	s_cbranch_scc1 label_1F19                                  // 00000000B9D0: BF850000

000000000000b9d4 <label_1F19>:
	s_waitcnt vmcnt(0) expcnt(0) lgkmcnt(0)                    // 00000000B9D4: BF8C0000
	s_endpgm                                                   // 00000000B9D8: BF810000
